;; amdgpu-corpus repo=ROCm/rocFFT kind=compiled arch=gfx1201 opt=O3
	.text
	.amdgcn_target "amdgcn-amd-amdhsa--gfx1201"
	.amdhsa_code_object_version 6
	.protected	bluestein_single_fwd_len1683_dim1_dp_op_CI_CI ; -- Begin function bluestein_single_fwd_len1683_dim1_dp_op_CI_CI
	.globl	bluestein_single_fwd_len1683_dim1_dp_op_CI_CI
	.p2align	8
	.type	bluestein_single_fwd_len1683_dim1_dp_op_CI_CI,@function
bluestein_single_fwd_len1683_dim1_dp_op_CI_CI: ; @bluestein_single_fwd_len1683_dim1_dp_op_CI_CI
; %bb.0:
	s_load_b128 s[12:15], s[0:1], 0x28
	v_mul_u32_u24_e32 v1, 0x506, v0
	s_mov_b32 s2, exec_lo
	v_mov_b32_e32 v6, 0
	s_delay_alu instid0(VALU_DEP_2) | instskip(NEXT) | instid1(VALU_DEP_1)
	v_lshrrev_b32_e32 v1, 16, v1
	v_add_nc_u32_e32 v5, ttmp9, v1
	s_wait_kmcnt 0x0
	s_delay_alu instid0(VALU_DEP_1)
	v_cmpx_gt_u64_e64 s[12:13], v[5:6]
	s_cbranch_execz .LBB0_15
; %bb.1:
	s_clause 0x1
	s_load_b128 s[4:7], s[0:1], 0x18
	s_load_b64 s[12:13], s[0:1], 0x0
	v_mul_lo_u16 v1, v1, 51
	v_mov_b32_e32 v6, v5
	s_delay_alu instid0(VALU_DEP_2)
	v_sub_nc_u16 v2, v0, v1
	scratch_store_b64 off, v[6:7], off offset:220 ; 8-byte Folded Spill
	s_wait_kmcnt 0x0
	s_load_b128 s[8:11], s[4:5], 0x0
	s_wait_kmcnt 0x0
	v_mad_co_u64_u32 v[0:1], null, s10, v5, 0
	s_mul_u64 s[2:3], s[8:9], 0x63
	s_delay_alu instid0(VALU_DEP_1) | instskip(NEXT) | instid1(VALU_DEP_1)
	v_mad_co_u64_u32 v[5:6], null, s11, v5, v[1:2]
	v_dual_mov_b32 v1, v5 :: v_dual_and_b32 v158, 0xffff, v2
	s_delay_alu instid0(VALU_DEP_1)
	v_mad_co_u64_u32 v[3:4], null, s8, v158, 0
	v_lshlrev_b32_e32 v254, 4, v158
	s_clause 0x1
	global_load_b128 v[191:194], v254, s[12:13]
	global_load_b128 v[195:198], v254, s[12:13] offset:1584
	v_mad_co_u64_u32 v[6:7], null, s9, v158, v[4:5]
	v_lshlrev_b64_e32 v[0:1], 4, v[0:1]
	s_clause 0xb
	global_load_b128 v[187:190], v254, s[12:13] offset:3168
	global_load_b128 v[183:186], v254, s[12:13] offset:4752
	;; [unrolled: 1-line block ×12, first 2 shown]
	v_mov_b32_e32 v4, v6
	v_add_co_u32 v8, vcc_lo, s14, v0
	v_add_co_ci_u32_e32 v9, vcc_lo, s15, v1, vcc_lo
	s_delay_alu instid0(VALU_DEP_3) | instskip(SKIP_1) | instid1(VALU_DEP_1)
	v_lshlrev_b64_e32 v[3:4], 4, v[3:4]
	s_lshl_b64 s[14:15], s[2:3], 4
	v_add_co_u32 v0, vcc_lo, v8, v3
	s_wait_alu 0xfffd
	s_delay_alu instid0(VALU_DEP_2) | instskip(SKIP_1) | instid1(VALU_DEP_2)
	v_add_co_ci_u32_e32 v1, vcc_lo, v9, v4, vcc_lo
	s_wait_alu 0xfffe
	v_add_co_u32 v10, vcc_lo, v0, s14
	s_wait_alu 0xfffd
	s_delay_alu instid0(VALU_DEP_2) | instskip(NEXT) | instid1(VALU_DEP_2)
	v_add_co_ci_u32_e32 v11, vcc_lo, s15, v1, vcc_lo
	v_add_co_u32 v14, vcc_lo, v10, s14
	s_wait_alu 0xfffd
	s_delay_alu instid0(VALU_DEP_2)
	v_add_co_ci_u32_e32 v15, vcc_lo, s15, v11, vcc_lo
	s_clause 0x1
	global_load_b128 v[3:6], v[0:1], off
	global_load_b128 v[10:13], v[10:11], off
	v_add_co_u32 v18, vcc_lo, v14, s14
	s_wait_alu 0xfffd
	v_add_co_ci_u32_e32 v19, vcc_lo, s15, v15, vcc_lo
	s_delay_alu instid0(VALU_DEP_2) | instskip(SKIP_1) | instid1(VALU_DEP_2)
	v_add_co_u32 v0, vcc_lo, v18, s14
	s_wait_alu 0xfffd
	v_add_co_ci_u32_e32 v1, vcc_lo, s15, v19, vcc_lo
	s_clause 0x1
	global_load_b128 v[14:17], v[14:15], off
	global_load_b128 v[18:21], v[18:19], off
	v_add_co_u32 v26, vcc_lo, v0, s14
	s_wait_alu 0xfffd
	v_add_co_ci_u32_e32 v27, vcc_lo, s15, v1, vcc_lo
	global_load_b128 v[22:25], v[0:1], off
	v_add_co_u32 v0, vcc_lo, v26, s14
	s_wait_alu 0xfffd
	v_add_co_ci_u32_e32 v1, vcc_lo, s15, v27, vcc_lo
	;; [unrolled: 4-line block ×12, first 2 shown]
	s_clause 0x1
	global_load_b128 v[203:206], v254, s[12:13] offset:22176
	global_load_b128 v[199:202], v254, s[12:13] offset:23760
	global_load_b128 v[66:69], v[66:67], off
	global_load_b128 v[207:210], v254, s[12:13] offset:25344
	global_load_b128 v[70:73], v[0:1], off
	v_cmp_gt_u16_e32 vcc_lo, 48, v2
	v_or_b32_e32 v2, 0x600, v158
	s_wait_loadcnt 0x21
	scratch_store_b128 off, v[191:194], off offset:324 ; 16-byte Folded Spill
	s_wait_loadcnt 0x20
	scratch_store_b128 off, v[195:198], off offset:340 ; 16-byte Folded Spill
	;; [unrolled: 2-line block ×14, first 2 shown]
	s_wait_loadcnt 0x13
	v_mul_f64_e32 v[74:75], v[5:6], v[193:194]
	v_mul_f64_e32 v[76:77], v[3:4], v[193:194]
	s_wait_loadcnt 0x12
	v_mul_f64_e32 v[78:79], v[12:13], v[197:198]
	v_mul_f64_e32 v[80:81], v[10:11], v[197:198]
	;; [unrolled: 3-line block ×9, first 2 shown]
	v_fma_f64 v[3:4], v[3:4], v[191:192], v[74:75]
	v_fma_f64 v[5:6], v[5:6], v[191:192], -v[76:77]
	v_fma_f64 v[10:11], v[10:11], v[195:196], v[78:79]
	s_wait_loadcnt 0xa
	v_mul_f64_e32 v[110:111], v[44:45], v[156:157]
	v_mul_f64_e32 v[112:113], v[42:43], v[156:157]
	v_fma_f64 v[12:13], v[12:13], v[195:196], -v[80:81]
	v_add_co_u32 v74, s2, s12, v254
	s_wait_loadcnt 0x9
	v_mul_f64_e32 v[114:115], v[48:49], v[161:162]
	v_mul_f64_e32 v[116:117], v[46:47], v[161:162]
	v_fma_f64 v[14:15], v[14:15], v[187:188], v[82:83]
	v_fma_f64 v[16:17], v[16:17], v[187:188], -v[84:85]
	v_fma_f64 v[18:19], v[18:19], v[183:184], v[86:87]
	s_wait_loadcnt 0x8
	v_mul_f64_e32 v[118:119], v[52:53], v[165:166]
	v_mul_f64_e32 v[120:121], v[50:51], v[165:166]
	v_fma_f64 v[20:21], v[20:21], v[183:184], -v[88:89]
	v_fma_f64 v[22:23], v[22:23], v[171:172], v[90:91]
	v_fma_f64 v[24:25], v[24:25], v[171:172], -v[92:93]
	s_wait_loadcnt 0x7
	v_mul_f64_e32 v[122:123], v[56:57], v[169:170]
	v_mul_f64_e32 v[124:125], v[54:55], v[169:170]
	v_add_co_ci_u32_e64 v75, null, s13, 0, s2
	v_fma_f64 v[26:27], v[26:27], v[179:180], v[94:95]
	s_wait_loadcnt 0x6
	v_mul_f64_e32 v[126:127], v[60:61], v[177:178]
	v_mul_f64_e32 v[128:129], v[58:59], v[177:178]
	v_fma_f64 v[28:29], v[28:29], v[179:180], -v[96:97]
	v_fma_f64 v[30:31], v[30:31], v[142:143], v[98:99]
	v_fma_f64 v[32:33], v[32:33], v[142:143], -v[100:101]
	s_wait_loadcnt 0x4
	v_mul_f64_e32 v[130:131], v[64:65], v[205:206]
	v_mul_f64_e32 v[132:133], v[62:63], v[205:206]
	s_wait_loadcnt 0x2
	v_mul_f64_e32 v[134:135], v[68:69], v[201:202]
	v_mul_f64_e32 v[136:137], v[66:67], v[201:202]
	;; [unrolled: 3-line block ×3, first 2 shown]
	v_fma_f64 v[34:35], v[34:35], v[146:147], v[102:103]
	v_fma_f64 v[36:37], v[36:37], v[146:147], -v[104:105]
	v_fma_f64 v[38:39], v[38:39], v[150:151], v[106:107]
	v_fma_f64 v[40:41], v[40:41], v[150:151], -v[108:109]
	s_clause 0x1
	scratch_store_b128 off, v[203:206], off offset:372
	scratch_store_b128 off, v[199:202], off offset:356
	v_fma_f64 v[42:43], v[42:43], v[154:155], v[110:111]
	v_fma_f64 v[44:45], v[44:45], v[154:155], -v[112:113]
	scratch_store_b128 off, v[207:210], off offset:388 ; 16-byte Folded Spill
	s_load_b64 s[10:11], s[0:1], 0x38
	s_load_b128 s[4:7], s[6:7], 0x0
	scratch_store_b64 off, v[74:75], off offset:4 ; 8-byte Folded Spill
	v_fma_f64 v[46:47], v[46:47], v[159:160], v[114:115]
	v_fma_f64 v[48:49], v[48:49], v[159:160], -v[116:117]
	v_fma_f64 v[50:51], v[50:51], v[163:164], v[118:119]
	v_fma_f64 v[52:53], v[52:53], v[163:164], -v[120:121]
	ds_store_b128 v254, v[3:6]
	ds_store_b128 v254, v[10:13] offset:1584
	ds_store_b128 v254, v[14:17] offset:3168
	;; [unrolled: 1-line block ×11, first 2 shown]
	v_fma_f64 v[54:55], v[54:55], v[167:168], v[122:123]
	v_fma_f64 v[56:57], v[56:57], v[167:168], -v[124:125]
	v_fma_f64 v[58:59], v[58:59], v[175:176], v[126:127]
	v_fma_f64 v[60:61], v[60:61], v[175:176], -v[128:129]
	;; [unrolled: 2-line block ×5, first 2 shown]
	s_clause 0x1
	scratch_store_b32 off, v158, off
	scratch_store_b32 off, v2, off offset:1704
	ds_store_b128 v254, v[54:57] offset:19008
	ds_store_b128 v254, v[58:61] offset:20592
	;; [unrolled: 1-line block ×5, first 2 shown]
	s_and_saveexec_b32 s3, vcc_lo
	s_cbranch_execz .LBB0_3
; %bb.2:
	scratch_load_b64 v[130:131], off, off offset:4 ; 8-byte Folded Reload
	v_mad_co_u64_u32 v[18:19], null, 0xffffa030, s8, v[0:1]
	s_mul_i32 s2, s9, 0xffffa030
	s_wait_loadcnt 0x0
	s_clause 0x1
	global_load_b128 v[0:3], v[130:131], off offset:816
	global_load_b128 v[4:7], v[130:131], off offset:2400
	scratch_load_b32 v10, off, off          ; 4-byte Folded Reload
	s_wait_alu 0xfffe
	s_sub_co_i32 s2, s2, s8
	s_wait_loadcnt 0x0
	v_or_b32_e32 v25, 0x600, v10
	s_clause 0x1
	global_load_b128 v[10:13], v[130:131], off offset:3984
	global_load_b128 v[14:17], v[130:131], off offset:5568
	v_mad_co_u64_u32 v[50:51], null, s8, v25, 0
	s_wait_alu 0xfffe
	v_add_nc_u32_e32 v19, s2, v19
	v_add_co_u32 v22, s2, v18, s14
	s_delay_alu instid0(VALU_DEP_3) | instskip(SKIP_1) | instid1(VALU_DEP_3)
	v_mov_b32_e32 v24, v51
	s_wait_alu 0xf1ff
	v_add_co_ci_u32_e64 v23, s2, s15, v19, s2
	s_delay_alu instid0(VALU_DEP_3) | instskip(NEXT) | instid1(VALU_DEP_3)
	v_add_co_u32 v26, s2, v22, s14
	v_mad_co_u64_u32 v[51:52], null, s9, v25, v[24:25]
	s_wait_alu 0xf1ff
	s_delay_alu instid0(VALU_DEP_3) | instskip(NEXT) | instid1(VALU_DEP_3)
	v_add_co_ci_u32_e64 v27, s2, s15, v23, s2
	v_add_co_u32 v30, s2, v26, s14
	global_load_b128 v[18:21], v[18:19], off
	s_wait_alu 0xf1ff
	v_add_co_ci_u32_e64 v31, s2, s15, v27, s2
	v_add_co_u32 v34, s2, v30, s14
	v_lshlrev_b64_e32 v[50:51], 4, v[50:51]
	s_wait_alu 0xf1ff
	s_delay_alu instid0(VALU_DEP_3) | instskip(NEXT) | instid1(VALU_DEP_3)
	v_add_co_ci_u32_e64 v35, s2, s15, v31, s2
	v_add_co_u32 v38, s2, v34, s14
	global_load_b128 v[22:25], v[22:23], off
	s_wait_alu 0xf1ff
	v_add_co_ci_u32_e64 v39, s2, s15, v35, s2
	v_add_co_u32 v52, s2, v38, s14
	global_load_b128 v[26:29], v[26:27], off
	s_wait_alu 0xf1ff
	;; [unrolled: 4-line block ×5, first 2 shown]
	v_add_co_ci_u32_e64 v79, s2, s15, v75, s2
	v_add_co_u32 v90, s2, v78, s14
	s_clause 0x1
	global_load_b128 v[42:45], v[130:131], off offset:7152
	global_load_b128 v[46:49], v[130:131], off offset:8736
	s_wait_alu 0xf1ff
	v_add_co_ci_u32_e64 v91, s2, s15, v79, s2
	v_add_co_u32 v94, s2, v90, s14
	s_wait_alu 0xf1ff
	s_delay_alu instid0(VALU_DEP_2) | instskip(NEXT) | instid1(VALU_DEP_2)
	v_add_co_ci_u32_e64 v95, s2, s15, v91, s2
	v_add_co_u32 v106, s2, v94, s14
	s_wait_alu 0xf1ff
	s_delay_alu instid0(VALU_DEP_2) | instskip(NEXT) | instid1(VALU_DEP_2)
	;; [unrolled: 4-line block ×3, first 2 shown]
	v_add_co_ci_u32_e64 v111, s2, s15, v107, s2
	v_add_co_u32 v126, s2, v110, s14
	s_wait_alu 0xf1ff
	s_delay_alu instid0(VALU_DEP_2) | instskip(SKIP_3) | instid1(VALU_DEP_3)
	v_add_co_ci_u32_e64 v127, s2, s15, v111, s2
	v_add_co_u32 v8, s2, v8, v50
	s_wait_alu 0xf1ff
	v_add_co_ci_u32_e64 v9, s2, v9, v51, s2
	v_mad_co_u64_u32 v[134:135], null, 0xc60, s8, v[126:127]
	global_load_b128 v[50:53], v[52:53], off
	global_load_b128 v[54:57], v[54:55], off
	global_load_b128 v[58:61], v[8:9], off
	s_clause 0x2
	global_load_b128 v[62:65], v[130:131], off offset:24576
	global_load_b128 v[66:69], v[130:131], off offset:10320
	;; [unrolled: 1-line block ×3, first 2 shown]
	global_load_b128 v[74:77], v[74:75], off
	global_load_b128 v[78:81], v[78:79], off
	s_clause 0x1
	global_load_b128 v[82:85], v[130:131], off offset:13488
	global_load_b128 v[86:89], v[130:131], off offset:15072
	global_load_b128 v[90:93], v[90:91], off
	global_load_b128 v[94:97], v[94:95], off
	s_clause 0x1
	global_load_b128 v[98:101], v[130:131], off offset:16656
	global_load_b128 v[102:105], v[130:131], off offset:18240
	global_load_b128 v[106:109], v[106:107], off
	global_load_b128 v[110:113], v[110:111], off
	global_load_b128 v[114:117], v[130:131], off offset:19824
	v_mov_b32_e32 v8, v135
	s_delay_alu instid0(VALU_DEP_1) | instskip(NEXT) | instid1(VALU_DEP_1)
	v_mad_co_u64_u32 v[8:9], null, 0xc60, s9, v[8:9]
	v_mov_b32_e32 v135, v8
	s_clause 0x1
	global_load_b128 v[118:121], v[130:131], off offset:21408
	global_load_b128 v[122:125], v[130:131], off offset:22992
	global_load_b128 v[126:129], v[126:127], off
	global_load_b128 v[130:133], v[130:131], off offset:26160
	global_load_b128 v[134:137], v[134:135], off
	s_wait_loadcnt 0x1d
	v_mul_f64_e32 v[8:9], v[20:21], v[2:3]
	v_mul_f64_e32 v[2:3], v[18:19], v[2:3]
	s_wait_loadcnt 0x1c
	v_mul_f64_e32 v[138:139], v[24:25], v[6:7]
	v_mul_f64_e32 v[140:141], v[22:23], v[6:7]
	;; [unrolled: 3-line block ×6, first 2 shown]
	v_fma_f64 v[6:7], v[18:19], v[0:1], v[8:9]
	v_fma_f64 v[8:9], v[20:21], v[0:1], -v[2:3]
	v_fma_f64 v[0:1], v[22:23], v[4:5], v[138:139]
	v_fma_f64 v[2:3], v[24:25], v[4:5], -v[140:141]
	;; [unrolled: 2-line block ×4, first 2 shown]
	s_wait_loadcnt 0x12
	v_mul_f64_e32 v[150:151], v[60:61], v[64:65]
	s_wait_loadcnt 0x11
	v_mul_f64_e32 v[154:155], v[52:53], v[68:69]
	v_mul_f64_e32 v[68:69], v[50:51], v[68:69]
	s_wait_loadcnt 0x10
	v_mul_f64_e32 v[156:157], v[56:57], v[72:73]
	;; [unrolled: 3-line block ×7, first 2 shown]
	v_mul_f64_e32 v[116:117], v[106:107], v[116:117]
	v_mul_f64_e32 v[64:65], v[58:59], v[64:65]
	v_fma_f64 v[20:21], v[34:35], v[42:43], v[148:149]
	v_fma_f64 v[22:23], v[36:37], v[42:43], -v[44:45]
	v_fma_f64 v[28:29], v[38:39], v[46:47], v[152:153]
	s_wait_loadcnt 0x4
	v_mul_f64_e32 v[168:169], v[112:113], v[120:121]
	v_mul_f64_e32 v[120:121], v[110:111], v[120:121]
	s_wait_loadcnt 0x2
	v_mul_f64_e32 v[170:171], v[128:129], v[124:125]
	v_mul_f64_e32 v[124:125], v[126:127], v[124:125]
	;; [unrolled: 3-line block ×3, first 2 shown]
	v_fma_f64 v[30:31], v[40:41], v[46:47], -v[48:49]
	v_fma_f64 v[24:25], v[58:59], v[62:63], v[150:151]
	v_fma_f64 v[32:33], v[50:51], v[66:67], v[154:155]
	v_fma_f64 v[34:35], v[52:53], v[66:67], -v[68:69]
	v_fma_f64 v[36:37], v[54:55], v[70:71], v[156:157]
	v_fma_f64 v[38:39], v[56:57], v[70:71], -v[72:73]
	;; [unrolled: 2-line block ×7, first 2 shown]
	v_fma_f64 v[26:27], v[60:61], v[62:63], -v[64:65]
	v_fma_f64 v[60:61], v[110:111], v[118:119], v[168:169]
	v_fma_f64 v[62:63], v[112:113], v[118:119], -v[120:121]
	v_fma_f64 v[64:65], v[126:127], v[122:123], v[170:171]
	;; [unrolled: 2-line block ×3, first 2 shown]
	v_fma_f64 v[70:71], v[136:137], v[130:131], -v[132:133]
	ds_store_b128 v254, v[6:9] offset:816
	ds_store_b128 v254, v[0:3] offset:2400
	;; [unrolled: 1-line block ×17, first 2 shown]
.LBB0_3:
	s_wait_alu 0xfffe
	s_or_b32 exec_lo, exec_lo, s3
	global_wb scope:SCOPE_SE
	s_wait_storecnt_dscnt 0x0
	s_wait_kmcnt 0x0
	s_barrier_signal -1
	s_barrier_wait -1
	global_inv scope:SCOPE_SE
	ds_load_b128 v[68:71], v254
	ds_load_b128 v[72:75], v254 offset:1584
	ds_load_b128 v[76:79], v254 offset:3168
	ds_load_b128 v[84:87], v254 offset:4752
	ds_load_b128 v[92:95], v254 offset:6336
	ds_load_b128 v[100:103], v254 offset:7920
	ds_load_b128 v[112:115], v254 offset:9504
	ds_load_b128 v[120:123], v254 offset:11088
	ds_load_b128 v[132:135], v254 offset:12672
	ds_load_b128 v[128:131], v254 offset:14256
	ds_load_b128 v[124:127], v254 offset:15840
	ds_load_b128 v[116:119], v254 offset:17424
	ds_load_b128 v[108:111], v254 offset:19008
	ds_load_b128 v[104:107], v254 offset:20592
	ds_load_b128 v[96:99], v254 offset:22176
	ds_load_b128 v[88:91], v254 offset:23760
	ds_load_b128 v[80:83], v254 offset:25344
	s_load_b64 s[0:1], s[0:1], 0x8
                                        ; implicit-def: $vgpr2_vgpr3
                                        ; implicit-def: $vgpr0_vgpr1
                                        ; implicit-def: $vgpr44_vgpr45
                                        ; implicit-def: $vgpr48_vgpr49
                                        ; implicit-def: $vgpr56_vgpr57
                                        ; implicit-def: $vgpr60_vgpr61
                                        ; implicit-def: $vgpr64_vgpr65
                                        ; implicit-def: $vgpr52_vgpr53
                                        ; implicit-def: $vgpr40_vgpr41
                                        ; implicit-def: $vgpr36_vgpr37
                                        ; implicit-def: $vgpr32_vgpr33
                                        ; implicit-def: $vgpr28_vgpr29
	s_clause 0x5
	scratch_store_b128 off, v[2:5], off offset:108
	; meta instruction
	scratch_store_b128 off, v[2:5], off offset:92
	; meta instruction
	;; [unrolled: 2-line block ×5, first 2 shown]
	scratch_store_b128 off, v[2:5], off offset:28
	s_and_saveexec_b32 s2, vcc_lo
	s_cbranch_execz .LBB0_5
; %bb.4:
	ds_load_b128 v[0:3], v254 offset:816
	ds_load_b128 v[44:47], v254 offset:2400
	;; [unrolled: 1-line block ×12, first 2 shown]
	s_wait_dscnt 0x0
	scratch_store_b128 off, v[4:7], off offset:108 ; 16-byte Folded Spill
	ds_load_b128 v[4:7], v254 offset:19824
	s_wait_dscnt 0x0
	scratch_store_b128 off, v[4:7], off offset:92 ; 16-byte Folded Spill
	ds_load_b128 v[4:7], v254 offset:21408
	;; [unrolled: 3-line block ×5, first 2 shown]
	s_wait_dscnt 0x0
	scratch_store_b128 off, v[4:7], off offset:28 ; 16-byte Folded Spill
.LBB0_5:
	s_wait_alu 0xfffe
	s_or_b32 exec_lo, exec_lo, s2
	s_wait_dscnt 0xf
	v_add_f64_e32 v[136:137], v[68:69], v[72:73]
	v_add_f64_e32 v[138:139], v[70:71], v[74:75]
	s_wait_dscnt 0x7
	v_add_f64_e64 v[142:143], v[134:135], -v[130:131]
	v_add_f64_e64 v[140:141], v[132:133], -v[128:129]
	s_wait_dscnt 0x2
	v_add_f64_e64 v[148:149], v[84:85], -v[96:97]
	v_add_f64_e64 v[150:151], v[86:87], -v[98:99]
	;; [unrolled: 3-line block ×3, first 2 shown]
	s_mov_b32 s2, 0x5d8e7cdc
	s_mov_b32 s14, 0x2a9d6da3
	s_mov_b32 s24, 0x7c9e640b
	s_mov_b32 s30, 0xeb564b22
	s_mov_b32 s42, 0x923c349f
	s_mov_b32 s20, 0x6c9a05f6
	s_mov_b32 s16, 0x4363dd80
	s_mov_b32 s36, 0xacd6c6b4
	s_mov_b32 s3, 0xbfd71e95
	s_mov_b32 s15, 0xbfe58eea
	s_mov_b32 s25, 0xbfeca52d
	s_mov_b32 s31, 0xbfefdd0d
	s_mov_b32 s43, 0xbfeec746
	s_mov_b32 s21, 0xbfe9895b
	s_mov_b32 s17, 0xbfe0d888
	s_mov_b32 s37, 0xbfc7851a
	s_mov_b32 s8, 0x370991
	s_mov_b32 s18, 0x75d4884
	s_mov_b32 s28, 0x2b2883cd
	s_mov_b32 s34, 0x3259b75e
	s_mov_b32 s40, 0xc61f0d01
	s_mov_b32 s26, 0x6ed5f1bb
	s_mov_b32 s22, 0x910ea3b9
	s_mov_b32 s38, 0x7faef3
	s_mov_b32 s9, 0x3fedd6d0
	s_mov_b32 s19, 0x3fe7a5f6
	s_mov_b32 s29, 0x3fdc86fa
	s_mov_b32 s35, 0x3fb79ee6
	s_mov_b32 s41, 0xbfd183b1
	s_mov_b32 s27, 0xbfe348c8
	v_add_f64_e32 v[136:137], v[136:137], v[76:77]
	v_add_f64_e32 v[138:139], v[138:139], v[78:79]
	s_mov_b32 s23, 0xbfeb34fa
	s_mov_b32 s39, 0xbfef7484
	;; [unrolled: 1-line block ×9, first 2 shown]
	s_wait_alu 0xfffe
	s_mov_b32 s46, s2
	v_mul_f64_e32 v[236:237], s[20:21], v[154:155]
	s_mov_b32 s55, 0x3fc7851a
	s_mov_b32 s54, s36
	v_mul_f64_e32 v[238:239], s[20:21], v[152:153]
	v_mul_f64_e32 v[240:241], s[54:55], v[150:151]
	;; [unrolled: 1-line block ×3, first 2 shown]
	s_mov_b32 s51, 0x3fe58eea
	s_mov_b32 s50, s14
	;; [unrolled: 1-line block ×4, first 2 shown]
	v_mul_f64_e32 v[24:25], s[50:51], v[142:143]
	s_mov_b32 s59, 0x3fefdd0d
	s_mov_b32 s58, s30
	v_add_f64_e32 v[136:137], v[136:137], v[84:85]
	v_add_f64_e32 v[138:139], v[138:139], v[86:87]
	s_delay_alu instid0(VALU_DEP_2) | instskip(NEXT) | instid1(VALU_DEP_2)
	v_add_f64_e32 v[136:137], v[136:137], v[92:93]
	v_add_f64_e32 v[138:139], v[138:139], v[94:95]
	s_delay_alu instid0(VALU_DEP_2) | instskip(NEXT) | instid1(VALU_DEP_2)
	;; [unrolled: 3-line block ×5, first 2 shown]
	v_add_f64_e32 v[136:137], v[136:137], v[132:133]
	v_add_f64_e32 v[138:139], v[138:139], v[134:135]
	;; [unrolled: 1-line block ×4, first 2 shown]
	s_delay_alu instid0(VALU_DEP_4) | instskip(NEXT) | instid1(VALU_DEP_4)
	v_add_f64_e32 v[144:145], v[136:137], v[128:129]
	v_add_f64_e32 v[146:147], v[138:139], v[130:131]
	;; [unrolled: 1-line block ×4, first 2 shown]
	v_add_f64_e64 v[136:137], v[120:121], -v[124:125]
	v_add_f64_e64 v[138:139], v[122:123], -v[126:127]
	v_add_f64_e32 v[120:121], v[112:113], v[116:117]
	v_add_f64_e32 v[122:123], v[114:115], v[118:119]
	v_fma_f64 v[26:27], v[132:133], s[18:19], -v[24:25]
	v_add_f64_e32 v[144:145], v[144:145], v[124:125]
	v_add_f64_e32 v[146:147], v[146:147], v[126:127]
	v_add_f64_e64 v[124:125], v[112:113], -v[116:117]
	v_add_f64_e64 v[126:127], v[114:115], -v[118:119]
	v_add_f64_e32 v[112:113], v[100:101], v[108:109]
	v_add_f64_e32 v[114:115], v[102:103], v[110:111]
	v_mul_f64_e32 v[12:13], s[30:31], v[136:137]
	v_mul_f64_e32 v[8:9], s[30:31], v[138:139]
	;; [unrolled: 1-line block ×3, first 2 shown]
	v_add_f64_e32 v[144:145], v[144:145], v[116:117]
	v_add_f64_e32 v[146:147], v[146:147], v[118:119]
	v_add_f64_e64 v[116:117], v[100:101], -v[108:109]
	v_add_f64_e64 v[118:119], v[102:103], -v[110:111]
	v_add_f64_e32 v[100:101], v[92:93], v[104:105]
	v_add_f64_e32 v[102:103], v[94:95], v[106:107]
	v_mul_f64_e32 v[4:5], s[2:3], v[124:125]
	v_mul_f64_e32 v[244:245], s[2:3], v[126:127]
	v_fma_f64 v[14:15], v[130:131], s[34:35], v[12:13]
	v_fma_f64 v[10:11], v[128:129], s[34:35], -v[8:9]
	v_mul_f64_e32 v[16:17], s[16:17], v[126:127]
	v_fma_f64 v[22:23], v[128:129], s[26:27], -v[20:21]
	v_fma_f64 v[20:21], v[128:129], s[26:27], v[20:21]
	v_fma_f64 v[8:9], v[128:129], s[34:35], v[8:9]
	v_add_f64_e32 v[108:109], v[144:145], v[108:109]
	v_add_f64_e32 v[110:111], v[146:147], v[110:111]
	v_add_f64_e64 v[144:145], v[92:93], -v[104:105]
	v_add_f64_e64 v[146:147], v[94:95], -v[106:107]
	v_mul_f64_e32 v[250:251], s[50:51], v[118:119]
	v_mul_f64_e32 v[252:253], s[50:51], v[116:117]
	v_fma_f64 v[6:7], v[122:123], s[8:9], v[4:5]
	v_fma_f64 v[4:5], v[122:123], s[8:9], -v[4:5]
	v_fma_f64 v[18:19], v[120:121], s[22:23], -v[16:17]
	v_fma_f64 v[16:17], v[120:121], s[22:23], v[16:17]
	v_add_f64_e32 v[92:93], v[108:109], v[104:105]
	v_add_f64_e32 v[94:95], v[110:111], v[106:107]
	;; [unrolled: 1-line block ×4, first 2 shown]
	v_mul_f64_e32 v[246:247], s[56:57], v[146:147]
	v_mul_f64_e32 v[248:249], s[56:57], v[144:145]
	v_add_f64_e32 v[84:85], v[92:93], v[96:97]
	v_add_f64_e32 v[86:87], v[94:95], v[98:99]
	;; [unrolled: 1-line block ×4, first 2 shown]
	s_delay_alu instid0(VALU_DEP_4) | instskip(NEXT) | instid1(VALU_DEP_4)
	v_add_f64_e32 v[76:77], v[84:85], v[88:89]
	v_add_f64_e32 v[78:79], v[86:87], v[90:91]
	s_wait_dscnt 0x0
	v_add_f64_e64 v[84:85], v[74:75], -v[82:83]
	v_add_f64_e64 v[90:91], v[72:73], -v[80:81]
	v_add_f64_e32 v[86:87], v[72:73], v[80:81]
	v_add_f64_e32 v[88:89], v[74:75], v[82:83]
	;; [unrolled: 1-line block ×4, first 2 shown]
	v_mul_f64_e32 v[76:77], s[2:3], v[84:85]
	v_mul_f64_e32 v[78:79], s[14:15], v[84:85]
	;; [unrolled: 1-line block ×13, first 2 shown]
	v_fma_f64 v[110:111], v[86:87], s[8:9], -v[76:77]
	v_fma_f64 v[76:77], v[86:87], s[8:9], v[76:77]
	v_fma_f64 v[156:157], v[86:87], s[18:19], -v[78:79]
	v_fma_f64 v[78:79], v[86:87], s[18:19], v[78:79]
	;; [unrolled: 2-line block ×8, first 2 shown]
	v_mul_f64_e32 v[86:87], s[2:3], v[90:91]
	v_mul_f64_e32 v[108:109], s[14:15], v[90:91]
	;; [unrolled: 1-line block ×3, first 2 shown]
	v_fma_f64 v[190:191], v[88:89], s[34:35], v[174:175]
	v_fma_f64 v[174:175], v[88:89], s[34:35], -v[174:175]
	v_fma_f64 v[188:189], v[88:89], s[28:29], v[170:171]
	v_fma_f64 v[170:171], v[88:89], s[28:29], -v[170:171]
	;; [unrolled: 2-line block ×5, first 2 shown]
	v_add_f64_e32 v[204:205], v[68:69], v[76:77]
	v_add_f64_e32 v[206:207], v[68:69], v[156:157]
	v_add_f64_e32 v[208:209], v[68:69], v[158:159]
	v_add_f64_e32 v[158:159], v[68:69], v[80:81]
	v_add_f64_e32 v[212:213], v[68:69], v[160:161]
	v_add_f64_e32 v[216:217], v[68:69], v[82:83]
	v_add_f64_e32 v[220:221], v[68:69], v[162:163]
	v_add_f64_e32 v[224:225], v[68:69], v[92:93]
	v_add_f64_e32 v[228:229], v[68:69], v[164:165]
	v_add_f64_e32 v[232:233], v[68:69], v[94:95]
	v_add_f64_e32 v[202:203], v[68:69], v[166:167]
	v_mul_f64_e32 v[80:81], s[14:15], v[152:153]
	v_add_f64_e32 v[166:167], v[68:69], v[172:173]
	v_add_f64_e32 v[162:163], v[68:69], v[84:85]
	v_fma_f64 v[182:183], v[88:89], s[8:9], v[86:87]
	v_fma_f64 v[86:87], v[88:89], s[8:9], -v[86:87]
	v_fma_f64 v[184:185], v[88:89], s[18:19], v[108:109]
	v_fma_f64 v[186:187], v[88:89], s[18:19], -v[108:109]
	;; [unrolled: 2-line block ×3, first 2 shown]
	v_add_f64_e32 v[90:91], v[68:69], v[110:111]
	v_add_f64_e32 v[108:109], v[68:69], v[78:79]
	;; [unrolled: 1-line block ×4, first 2 shown]
	v_mul_f64_e32 v[68:69], s[14:15], v[154:155]
	v_add_f64_e32 v[210:211], v[70:71], v[188:189]
	v_add_f64_e32 v[156:157], v[70:71], v[170:171]
	;; [unrolled: 1-line block ×9, first 2 shown]
	v_mul_f64_e32 v[82:83], s[24:25], v[150:151]
	v_mul_f64_e32 v[84:85], s[24:25], v[148:149]
	v_mul_f64_e32 v[92:93], s[42:43], v[118:119]
	v_mul_f64_e32 v[94:95], s[42:43], v[116:117]
	v_mul_f64_e32 v[168:169], s[20:21], v[126:127]
	v_mul_f64_e32 v[172:173], s[20:21], v[124:125]
	v_mul_f64_e32 v[176:177], s[16:17], v[138:139]
	v_mul_f64_e32 v[178:179], s[16:17], v[136:137]
	v_mul_f64_e32 v[180:181], s[36:37], v[142:143]
	v_mul_f64_e32 v[188:189], s[56:57], v[126:127]
	v_mul_f64_e32 v[190:191], s[56:57], v[124:125]
	v_mul_f64_e32 v[192:193], s[48:49], v[138:139]
	v_mul_f64_e32 v[194:195], s[48:49], v[136:137]
	v_mul_f64_e32 v[196:197], s[46:47], v[142:143]
	v_fma_f64 v[76:77], v[98:99], s[18:19], v[80:81]
	v_fma_f64 v[80:81], v[98:99], s[18:19], -v[80:81]
	v_add_f64_e32 v[182:183], v[70:71], v[182:183]
	v_add_f64_e32 v[86:87], v[70:71], v[86:87]
	;; [unrolled: 1-line block ×6, first 2 shown]
	v_mul_f64_e32 v[88:89], s[30:31], v[146:147]
	v_mul_f64_e32 v[186:187], s[44:45], v[116:117]
	;; [unrolled: 1-line block ×3, first 2 shown]
	v_fma_f64 v[70:71], v[96:97], s[18:19], -v[68:69]
	v_fma_f64 v[68:69], v[96:97], s[18:19], v[68:69]
	v_fma_f64 v[78:79], v[104:105], s[28:29], -v[82:83]
	v_fma_f64 v[82:83], v[104:105], s[28:29], v[82:83]
	v_add_f64_e32 v[76:77], v[76:77], v[182:183]
	v_add_f64_e32 v[80:81], v[80:81], v[86:87]
	v_fma_f64 v[86:87], v[98:99], s[26:27], v[238:239]
	v_add_f64_e32 v[70:71], v[70:71], v[90:91]
	v_mul_f64_e32 v[90:91], s[30:31], v[144:145]
	v_add_f64_e32 v[68:69], v[68:69], v[204:205]
	v_mul_f64_e32 v[204:205], s[56:57], v[150:151]
	v_add_f64_e32 v[86:87], v[86:87], v[210:211]
	v_mul_f64_e32 v[210:211], s[46:47], v[144:145]
	v_add_f64_e32 v[70:71], v[78:79], v[70:71]
	v_fma_f64 v[78:79], v[106:107], s[28:29], v[84:85]
	v_add_f64_e32 v[68:69], v[82:83], v[68:69]
	v_fma_f64 v[82:83], v[106:107], s[28:29], -v[84:85]
	s_delay_alu instid0(VALU_DEP_3) | instskip(SKIP_1) | instid1(VALU_DEP_3)
	v_add_f64_e32 v[76:77], v[78:79], v[76:77]
	v_fma_f64 v[78:79], v[100:101], s[34:35], -v[88:89]
	v_add_f64_e32 v[80:81], v[82:83], v[80:81]
	v_fma_f64 v[82:83], v[100:101], s[34:35], v[88:89]
	v_fma_f64 v[88:89], v[104:105], s[38:39], -v[240:241]
	s_delay_alu instid0(VALU_DEP_4) | instskip(SKIP_1) | instid1(VALU_DEP_4)
	v_add_f64_e32 v[70:71], v[78:79], v[70:71]
	v_fma_f64 v[78:79], v[102:103], s[34:35], v[90:91]
	v_add_f64_e32 v[68:69], v[82:83], v[68:69]
	v_fma_f64 v[82:83], v[102:103], s[34:35], -v[90:91]
	v_mul_f64_e32 v[90:91], s[36:37], v[152:153]
	s_delay_alu instid0(VALU_DEP_4) | instskip(SKIP_1) | instid1(VALU_DEP_4)
	v_add_f64_e32 v[76:77], v[78:79], v[76:77]
	v_fma_f64 v[78:79], v[112:113], s[40:41], -v[92:93]
	v_add_f64_e32 v[80:81], v[82:83], v[80:81]
	v_fma_f64 v[82:83], v[112:113], s[40:41], v[92:93]
	v_fma_f64 v[92:93], v[98:99], s[38:39], v[90:91]
	s_delay_alu instid0(VALU_DEP_4) | instskip(SKIP_1) | instid1(VALU_DEP_4)
	v_add_f64_e32 v[70:71], v[78:79], v[70:71]
	v_fma_f64 v[78:79], v[114:115], s[40:41], v[94:95]
	v_add_f64_e32 v[68:69], v[82:83], v[68:69]
	v_fma_f64 v[82:83], v[114:115], s[40:41], -v[94:95]
	v_fma_f64 v[94:95], v[104:105], s[40:41], -v[204:205]
	v_add_f64_e32 v[92:93], v[92:93], v[214:215]
	v_mul_f64_e32 v[214:215], s[24:25], v[116:117]
	v_add_f64_e32 v[76:77], v[78:79], v[76:77]
	v_fma_f64 v[78:79], v[120:121], s[26:27], -v[168:169]
	v_add_f64_e32 v[80:81], v[82:83], v[80:81]
	v_fma_f64 v[82:83], v[120:121], s[26:27], v[168:169]
	v_mul_f64_e32 v[168:169], s[30:31], v[154:155]
	s_delay_alu instid0(VALU_DEP_4) | instskip(SKIP_1) | instid1(VALU_DEP_4)
	v_add_f64_e32 v[70:71], v[78:79], v[70:71]
	v_fma_f64 v[78:79], v[122:123], s[26:27], v[172:173]
	v_add_f64_e32 v[68:69], v[82:83], v[68:69]
	v_fma_f64 v[82:83], v[122:123], s[26:27], -v[172:173]
	v_mul_f64_e32 v[172:173], s[30:31], v[152:153]
	s_delay_alu instid0(VALU_DEP_4) | instskip(SKIP_1) | instid1(VALU_DEP_4)
	v_add_f64_e32 v[76:77], v[78:79], v[76:77]
	v_fma_f64 v[78:79], v[128:129], s[22:23], -v[176:177]
	v_add_f64_e32 v[80:81], v[82:83], v[80:81]
	v_fma_f64 v[82:83], v[128:129], s[22:23], v[176:177]
	v_mul_f64_e32 v[176:177], s[20:21], v[150:151]
	s_delay_alu instid0(VALU_DEP_4) | instskip(SKIP_1) | instid1(VALU_DEP_4)
	v_add_f64_e32 v[70:71], v[78:79], v[70:71]
	v_fma_f64 v[78:79], v[130:131], s[22:23], v[178:179]
	v_add_f64_e32 v[68:69], v[82:83], v[68:69]
	v_fma_f64 v[82:83], v[130:131], s[22:23], -v[178:179]
	v_fma_f64 v[84:85], v[104:105], s[26:27], -v[176:177]
	v_mul_f64_e32 v[178:179], s[20:21], v[148:149]
	v_add_f64_e32 v[78:79], v[78:79], v[76:77]
	v_fma_f64 v[76:77], v[132:133], s[38:39], -v[180:181]
	v_add_f64_e32 v[80:81], v[82:83], v[80:81]
	v_fma_f64 v[82:83], v[132:133], s[38:39], v[180:181]
	v_mul_f64_e32 v[180:181], s[36:37], v[146:147]
	s_delay_alu instid0(VALU_DEP_4) | instskip(SKIP_1) | instid1(VALU_DEP_4)
	v_add_f64_e32 v[76:77], v[76:77], v[70:71]
	v_mul_f64_e32 v[70:71], s[36:37], v[140:141]
	v_add_f64_e32 v[68:69], v[82:83], v[68:69]
	v_fma_f64 v[82:83], v[98:99], s[34:35], v[172:173]
	s_delay_alu instid0(VALU_DEP_3) | instskip(SKIP_1) | instid1(VALU_DEP_3)
	v_fma_f64 v[182:183], v[134:135], s[38:39], v[70:71]
	v_fma_f64 v[70:71], v[134:135], s[38:39], -v[70:71]
	v_add_f64_e32 v[82:83], v[82:83], v[184:185]
	v_mul_f64_e32 v[184:185], s[44:45], v[118:119]
	s_delay_alu instid0(VALU_DEP_4) | instskip(NEXT) | instid1(VALU_DEP_4)
	v_add_f64_e32 v[78:79], v[182:183], v[78:79]
	v_add_f64_e32 v[70:71], v[70:71], v[80:81]
	v_fma_f64 v[80:81], v[96:97], s[34:35], -v[168:169]
	v_mul_f64_e32 v[182:183], s[36:37], v[144:145]
	s_delay_alu instid0(VALU_DEP_2) | instskip(SKIP_1) | instid1(VALU_DEP_2)
	v_add_f64_e32 v[80:81], v[80:81], v[206:207]
	v_mul_f64_e32 v[206:207], s[56:57], v[148:149]
	v_add_f64_e32 v[80:81], v[84:85], v[80:81]
	v_fma_f64 v[84:85], v[106:107], s[26:27], v[178:179]
	s_delay_alu instid0(VALU_DEP_1) | instskip(SKIP_1) | instid1(VALU_DEP_1)
	v_add_f64_e32 v[82:83], v[84:85], v[82:83]
	v_fma_f64 v[84:85], v[100:101], s[38:39], -v[180:181]
	v_add_f64_e32 v[80:81], v[84:85], v[80:81]
	v_fma_f64 v[84:85], v[102:103], s[38:39], v[182:183]
	s_delay_alu instid0(VALU_DEP_1) | instskip(SKIP_1) | instid1(VALU_DEP_1)
	v_add_f64_e32 v[82:83], v[84:85], v[82:83]
	v_fma_f64 v[84:85], v[112:113], s[22:23], -v[184:185]
	;; [unrolled: 5-line block ×6, first 2 shown]
	v_add_f64_e32 v[84:85], v[84:85], v[208:209]
	v_mul_f64_e32 v[208:209], s[46:47], v[146:147]
	s_delay_alu instid0(VALU_DEP_2) | instskip(SKIP_1) | instid1(VALU_DEP_1)
	v_add_f64_e32 v[84:85], v[88:89], v[84:85]
	v_fma_f64 v[88:89], v[106:107], s[38:39], v[242:243]
	v_add_f64_e32 v[86:87], v[88:89], v[86:87]
	v_fma_f64 v[88:89], v[100:101], s[40:41], -v[246:247]
	s_delay_alu instid0(VALU_DEP_1) | instskip(SKIP_1) | instid1(VALU_DEP_1)
	v_add_f64_e32 v[84:85], v[88:89], v[84:85]
	v_fma_f64 v[88:89], v[102:103], s[40:41], v[248:249]
	v_add_f64_e32 v[86:87], v[88:89], v[86:87]
	v_fma_f64 v[88:89], v[112:113], s[18:19], -v[250:251]
	s_delay_alu instid0(VALU_DEP_1) | instskip(SKIP_1) | instid1(VALU_DEP_1)
	v_add_f64_e32 v[84:85], v[88:89], v[84:85]
	v_fma_f64 v[88:89], v[114:115], s[18:19], v[252:253]
	v_add_f64_e32 v[86:87], v[88:89], v[86:87]
	v_fma_f64 v[88:89], v[120:121], s[8:9], -v[244:245]
	s_delay_alu instid0(VALU_DEP_2) | instskip(NEXT) | instid1(VALU_DEP_2)
	v_add_f64_e32 v[6:7], v[6:7], v[86:87]
	v_add_f64_e32 v[84:85], v[88:89], v[84:85]
	s_delay_alu instid0(VALU_DEP_2) | instskip(SKIP_1) | instid1(VALU_DEP_3)
	v_add_f64_e32 v[6:7], v[14:15], v[6:7]
	v_mul_f64_e32 v[14:15], s[16:17], v[142:143]
	v_add_f64_e32 v[10:11], v[10:11], v[84:85]
	s_delay_alu instid0(VALU_DEP_2) | instskip(NEXT) | instid1(VALU_DEP_1)
	v_fma_f64 v[84:85], v[132:133], s[22:23], -v[14:15]
	v_add_f64_e32 v[84:85], v[84:85], v[10:11]
	v_mul_f64_e32 v[10:11], s[16:17], v[140:141]
	s_delay_alu instid0(VALU_DEP_1) | instskip(SKIP_1) | instid1(VALU_DEP_2)
	v_fma_f64 v[86:87], v[134:135], s[22:23], v[10:11]
	v_fma_f64 v[10:11], v[134:135], s[22:23], -v[10:11]
	v_add_f64_e32 v[86:87], v[86:87], v[6:7]
	v_mul_f64_e32 v[6:7], s[36:37], v[154:155]
	s_delay_alu instid0(VALU_DEP_1) | instskip(SKIP_1) | instid1(VALU_DEP_2)
	v_fma_f64 v[88:89], v[96:97], s[38:39], -v[6:7]
	v_fma_f64 v[6:7], v[96:97], s[38:39], v[6:7]
	v_add_f64_e32 v[88:89], v[88:89], v[212:213]
	v_mul_f64_e32 v[212:213], s[24:25], v[118:119]
	s_delay_alu instid0(VALU_DEP_3) | instskip(SKIP_1) | instid1(VALU_DEP_4)
	v_add_f64_e32 v[6:7], v[6:7], v[216:217]
	v_mul_f64_e32 v[216:217], s[58:59], v[124:125]
	v_add_f64_e32 v[88:89], v[94:95], v[88:89]
	v_fma_f64 v[94:95], v[106:107], s[40:41], v[206:207]
	s_delay_alu instid0(VALU_DEP_1) | instskip(SKIP_1) | instid1(VALU_DEP_1)
	v_add_f64_e32 v[92:93], v[94:95], v[92:93]
	v_fma_f64 v[94:95], v[100:101], s[8:9], -v[208:209]
	v_add_f64_e32 v[88:89], v[94:95], v[88:89]
	v_fma_f64 v[94:95], v[102:103], s[8:9], v[210:211]
	s_delay_alu instid0(VALU_DEP_1) | instskip(SKIP_1) | instid1(VALU_DEP_1)
	v_add_f64_e32 v[92:93], v[94:95], v[92:93]
	v_fma_f64 v[94:95], v[112:113], s[28:29], -v[212:213]
	v_add_f64_e32 v[88:89], v[94:95], v[88:89]
	v_fma_f64 v[94:95], v[114:115], s[28:29], v[214:215]
	s_delay_alu instid0(VALU_DEP_2) | instskip(SKIP_1) | instid1(VALU_DEP_3)
	v_add_f64_e32 v[18:19], v[18:19], v[88:89]
	v_mul_f64_e32 v[88:89], s[16:17], v[124:125]
	v_add_f64_e32 v[92:93], v[94:95], v[92:93]
	s_delay_alu instid0(VALU_DEP_3) | instskip(NEXT) | instid1(VALU_DEP_3)
	v_add_f64_e32 v[18:19], v[22:23], v[18:19]
	v_fma_f64 v[94:95], v[122:123], s[22:23], v[88:89]
	v_mul_f64_e32 v[22:23], s[52:53], v[136:137]
	s_delay_alu instid0(VALU_DEP_2) | instskip(NEXT) | instid1(VALU_DEP_2)
	v_add_f64_e32 v[92:93], v[94:95], v[92:93]
	v_fma_f64 v[94:95], v[130:131], s[26:27], v[22:23]
	s_delay_alu instid0(VALU_DEP_1) | instskip(SKIP_2) | instid1(VALU_DEP_1)
	v_add_f64_e32 v[94:95], v[94:95], v[92:93]
	v_add_f64_e32 v[92:93], v[26:27], v[18:19]
	v_mul_f64_e32 v[18:19], s[50:51], v[140:141]
	v_fma_f64 v[26:27], v[134:135], s[18:19], v[18:19]
	v_fma_f64 v[18:19], v[134:135], s[18:19], -v[18:19]
	s_delay_alu instid0(VALU_DEP_2) | instskip(SKIP_2) | instid1(VALU_DEP_2)
	v_add_f64_e32 v[94:95], v[26:27], v[94:95]
	v_fma_f64 v[26:27], v[98:99], s[38:39], -v[90:91]
	v_fma_f64 v[90:91], v[104:105], s[40:41], v[204:205]
	v_add_f64_e32 v[26:27], v[26:27], v[218:219]
	s_delay_alu instid0(VALU_DEP_2) | instskip(SKIP_2) | instid1(VALU_DEP_2)
	v_add_f64_e32 v[6:7], v[90:91], v[6:7]
	v_fma_f64 v[90:91], v[106:107], s[40:41], -v[206:207]
	v_mul_f64_e32 v[218:219], s[2:3], v[138:139]
	v_add_f64_e32 v[26:27], v[90:91], v[26:27]
	v_fma_f64 v[90:91], v[100:101], s[8:9], v[208:209]
	v_mul_f64_e32 v[208:209], s[24:25], v[144:145]
	s_delay_alu instid0(VALU_DEP_2) | instskip(SKIP_2) | instid1(VALU_DEP_2)
	v_add_f64_e32 v[6:7], v[90:91], v[6:7]
	v_fma_f64 v[90:91], v[102:103], s[8:9], -v[210:211]
	v_mul_f64_e32 v[210:211], s[36:37], v[118:119]
	v_add_f64_e32 v[26:27], v[90:91], v[26:27]
	v_fma_f64 v[90:91], v[112:113], s[28:29], v[212:213]
	v_mul_f64_e32 v[212:213], s[36:37], v[116:117]
	s_delay_alu instid0(VALU_DEP_2) | instskip(SKIP_2) | instid1(VALU_DEP_3)
	v_add_f64_e32 v[6:7], v[90:91], v[6:7]
	v_fma_f64 v[90:91], v[114:115], s[28:29], -v[214:215]
	v_mul_f64_e32 v[214:215], s[58:59], v[126:127]
	v_add_f64_e32 v[6:7], v[16:17], v[6:7]
	s_delay_alu instid0(VALU_DEP_3) | instskip(SKIP_1) | instid1(VALU_DEP_3)
	v_add_f64_e32 v[26:27], v[90:91], v[26:27]
	v_fma_f64 v[16:17], v[122:123], s[22:23], -v[88:89]
	v_add_f64_e32 v[6:7], v[20:21], v[6:7]
	v_fma_f64 v[20:21], v[130:131], s[26:27], -v[22:23]
	s_delay_alu instid0(VALU_DEP_3) | instskip(SKIP_1) | instid1(VALU_DEP_2)
	v_add_f64_e32 v[16:17], v[16:17], v[26:27]
	v_mul_f64_e32 v[22:23], s[50:51], v[150:151]
	v_add_f64_e32 v[16:17], v[20:21], v[16:17]
	v_fma_f64 v[20:21], v[132:133], s[18:19], v[24:25]
	s_delay_alu instid0(VALU_DEP_3) | instskip(NEXT) | instid1(VALU_DEP_3)
	v_fma_f64 v[24:25], v[104:105], s[18:19], -v[22:23]
	v_add_f64_e32 v[90:91], v[18:19], v[16:17]
	s_delay_alu instid0(VALU_DEP_3) | instskip(SKIP_2) | instid1(VALU_DEP_2)
	v_add_f64_e32 v[88:89], v[20:21], v[6:7]
	v_mul_f64_e32 v[6:7], s[44:45], v[154:155]
	v_mul_f64_e32 v[18:19], s[44:45], v[152:153]
	v_fma_f64 v[16:17], v[96:97], s[22:23], -v[6:7]
	s_delay_alu instid0(VALU_DEP_2) | instskip(SKIP_2) | instid1(VALU_DEP_4)
	v_fma_f64 v[20:21], v[98:99], s[22:23], v[18:19]
	v_fma_f64 v[6:7], v[96:97], s[22:23], v[6:7]
	v_fma_f64 v[18:19], v[98:99], s[22:23], -v[18:19]
	v_add_f64_e32 v[16:17], v[16:17], v[220:221]
	s_delay_alu instid0(VALU_DEP_4)
	v_add_f64_e32 v[20:21], v[20:21], v[222:223]
	v_mul_f64_e32 v[220:221], s[2:3], v[136:137]
	v_mul_f64_e32 v[222:223], s[20:21], v[142:143]
	v_add_f64_e32 v[6:7], v[6:7], v[224:225]
	v_add_f64_e32 v[18:19], v[18:19], v[226:227]
	v_mul_f64_e32 v[224:225], s[14:15], v[124:125]
	v_mul_f64_e32 v[226:227], s[36:37], v[138:139]
	v_add_f64_e32 v[16:17], v[24:25], v[16:17]
	v_mul_f64_e32 v[24:25], s[50:51], v[148:149]
	s_delay_alu instid0(VALU_DEP_1) | instskip(NEXT) | instid1(VALU_DEP_1)
	v_fma_f64 v[26:27], v[106:107], s[18:19], v[24:25]
	v_add_f64_e32 v[20:21], v[26:27], v[20:21]
	v_mul_f64_e32 v[26:27], s[24:25], v[146:147]
	s_delay_alu instid0(VALU_DEP_1) | instskip(NEXT) | instid1(VALU_DEP_1)
	v_fma_f64 v[204:205], v[100:101], s[28:29], -v[26:27]
	v_add_f64_e32 v[16:17], v[204:205], v[16:17]
	v_fma_f64 v[204:205], v[102:103], s[28:29], v[208:209]
	s_delay_alu instid0(VALU_DEP_1) | instskip(SKIP_1) | instid1(VALU_DEP_1)
	v_add_f64_e32 v[20:21], v[204:205], v[20:21]
	v_fma_f64 v[204:205], v[112:113], s[38:39], -v[210:211]
	v_add_f64_e32 v[16:17], v[204:205], v[16:17]
	v_fma_f64 v[204:205], v[114:115], s[38:39], v[212:213]
	s_delay_alu instid0(VALU_DEP_1) | instskip(SKIP_1) | instid1(VALU_DEP_1)
	v_add_f64_e32 v[20:21], v[204:205], v[20:21]
	;; [unrolled: 5-line block ×4, first 2 shown]
	v_fma_f64 v[204:205], v[132:133], s[26:27], -v[222:223]
	v_add_f64_e32 v[204:205], v[204:205], v[16:17]
	v_mul_f64_e32 v[16:17], s[20:21], v[140:141]
	s_delay_alu instid0(VALU_DEP_1) | instskip(SKIP_1) | instid1(VALU_DEP_2)
	v_fma_f64 v[206:207], v[134:135], s[26:27], v[16:17]
	v_fma_f64 v[16:17], v[134:135], s[26:27], -v[16:17]
	v_add_f64_e32 v[206:207], v[206:207], v[20:21]
	v_fma_f64 v[20:21], v[104:105], s[18:19], v[22:23]
	v_mul_f64_e32 v[22:23], s[2:3], v[150:151]
	s_delay_alu instid0(VALU_DEP_2) | instskip(SKIP_1) | instid1(VALU_DEP_3)
	v_add_f64_e32 v[6:7], v[20:21], v[6:7]
	v_fma_f64 v[20:21], v[106:107], s[18:19], -v[24:25]
	v_fma_f64 v[24:25], v[104:105], s[8:9], -v[22:23]
	s_delay_alu instid0(VALU_DEP_2) | instskip(SKIP_1) | instid1(VALU_DEP_1)
	v_add_f64_e32 v[18:19], v[20:21], v[18:19]
	v_fma_f64 v[20:21], v[100:101], s[28:29], v[26:27]
	v_add_f64_e32 v[6:7], v[20:21], v[6:7]
	v_fma_f64 v[20:21], v[102:103], s[28:29], -v[208:209]
	s_delay_alu instid0(VALU_DEP_1) | instskip(SKIP_1) | instid1(VALU_DEP_1)
	v_add_f64_e32 v[18:19], v[20:21], v[18:19]
	v_fma_f64 v[20:21], v[112:113], s[38:39], v[210:211]
	v_add_f64_e32 v[6:7], v[20:21], v[6:7]
	v_fma_f64 v[20:21], v[114:115], s[38:39], -v[212:213]
	s_delay_alu instid0(VALU_DEP_1) | instskip(SKIP_1) | instid1(VALU_DEP_1)
	v_add_f64_e32 v[18:19], v[20:21], v[18:19]
	v_fma_f64 v[20:21], v[120:121], s[34:35], v[214:215]
	v_add_f64_e32 v[6:7], v[20:21], v[6:7]
	v_fma_f64 v[20:21], v[122:123], s[34:35], -v[216:217]
	v_mul_f64_e32 v[216:217], s[16:17], v[144:145]
	s_delay_alu instid0(VALU_DEP_2) | instskip(SKIP_2) | instid1(VALU_DEP_2)
	v_add_f64_e32 v[18:19], v[20:21], v[18:19]
	v_fma_f64 v[20:21], v[128:129], s[8:9], v[218:219]
	v_mul_f64_e32 v[218:219], s[58:59], v[118:119]
	v_add_f64_e32 v[6:7], v[20:21], v[6:7]
	v_fma_f64 v[20:21], v[130:131], s[8:9], -v[220:221]
	v_mul_f64_e32 v[220:221], s[58:59], v[116:117]
	s_delay_alu instid0(VALU_DEP_2) | instskip(SKIP_2) | instid1(VALU_DEP_3)
	v_add_f64_e32 v[18:19], v[20:21], v[18:19]
	v_fma_f64 v[20:21], v[132:133], s[26:27], v[222:223]
	v_mul_f64_e32 v[222:223], s[14:15], v[126:127]
	v_add_f64_e32 v[210:211], v[16:17], v[18:19]
	s_delay_alu instid0(VALU_DEP_3) | instskip(SKIP_2) | instid1(VALU_DEP_2)
	v_add_f64_e32 v[208:209], v[20:21], v[6:7]
	v_mul_f64_e32 v[6:7], s[56:57], v[154:155]
	v_mul_f64_e32 v[18:19], s[56:57], v[152:153]
	v_fma_f64 v[16:17], v[96:97], s[40:41], -v[6:7]
	s_delay_alu instid0(VALU_DEP_2) | instskip(SKIP_2) | instid1(VALU_DEP_4)
	v_fma_f64 v[20:21], v[98:99], s[40:41], v[18:19]
	v_fma_f64 v[6:7], v[96:97], s[40:41], v[6:7]
	v_fma_f64 v[18:19], v[98:99], s[40:41], -v[18:19]
	v_add_f64_e32 v[16:17], v[16:17], v[228:229]
	s_delay_alu instid0(VALU_DEP_4)
	v_add_f64_e32 v[20:21], v[20:21], v[230:231]
	v_mul_f64_e32 v[228:229], s[36:37], v[136:137]
	v_mul_f64_e32 v[230:231], s[48:49], v[142:143]
	v_add_f64_e32 v[6:7], v[6:7], v[232:233]
	v_add_f64_e32 v[18:19], v[18:19], v[234:235]
	v_mul_f64_e32 v[232:233], s[50:51], v[136:137]
	v_mul_f64_e32 v[234:235], s[42:43], v[142:143]
	;; [unrolled: 1-line block ×4, first 2 shown]
	v_add_f64_e32 v[16:17], v[24:25], v[16:17]
	v_mul_f64_e32 v[24:25], s[2:3], v[148:149]
	s_delay_alu instid0(VALU_DEP_1) | instskip(NEXT) | instid1(VALU_DEP_1)
	v_fma_f64 v[26:27], v[106:107], s[8:9], v[24:25]
	v_add_f64_e32 v[20:21], v[26:27], v[20:21]
	v_mul_f64_e32 v[26:27], s[16:17], v[146:147]
	s_delay_alu instid0(VALU_DEP_1) | instskip(NEXT) | instid1(VALU_DEP_1)
	v_fma_f64 v[212:213], v[100:101], s[22:23], -v[26:27]
	v_add_f64_e32 v[16:17], v[212:213], v[16:17]
	v_fma_f64 v[212:213], v[102:103], s[22:23], v[216:217]
	s_delay_alu instid0(VALU_DEP_1) | instskip(SKIP_1) | instid1(VALU_DEP_1)
	v_add_f64_e32 v[20:21], v[212:213], v[20:21]
	v_fma_f64 v[212:213], v[112:113], s[34:35], -v[218:219]
	v_add_f64_e32 v[16:17], v[212:213], v[16:17]
	v_fma_f64 v[212:213], v[114:115], s[34:35], v[220:221]
	s_delay_alu instid0(VALU_DEP_1) | instskip(SKIP_1) | instid1(VALU_DEP_1)
	v_add_f64_e32 v[20:21], v[212:213], v[20:21]
	;; [unrolled: 5-line block ×4, first 2 shown]
	v_fma_f64 v[212:213], v[132:133], s[28:29], -v[230:231]
	v_add_f64_e32 v[212:213], v[212:213], v[16:17]
	v_mul_f64_e32 v[16:17], s[48:49], v[140:141]
	s_delay_alu instid0(VALU_DEP_1) | instskip(SKIP_1) | instid1(VALU_DEP_2)
	v_fma_f64 v[214:215], v[134:135], s[28:29], v[16:17]
	v_fma_f64 v[16:17], v[134:135], s[28:29], -v[16:17]
	v_add_f64_e32 v[214:215], v[214:215], v[20:21]
	v_fma_f64 v[20:21], v[104:105], s[8:9], v[22:23]
	v_mul_f64_e32 v[22:23], s[30:31], v[150:151]
	s_delay_alu instid0(VALU_DEP_2) | instskip(SKIP_1) | instid1(VALU_DEP_3)
	v_add_f64_e32 v[6:7], v[20:21], v[6:7]
	v_fma_f64 v[20:21], v[106:107], s[8:9], -v[24:25]
	v_fma_f64 v[24:25], v[104:105], s[34:35], -v[22:23]
	s_delay_alu instid0(VALU_DEP_2) | instskip(SKIP_1) | instid1(VALU_DEP_1)
	v_add_f64_e32 v[18:19], v[20:21], v[18:19]
	v_fma_f64 v[20:21], v[100:101], s[22:23], v[26:27]
	v_add_f64_e32 v[6:7], v[20:21], v[6:7]
	v_fma_f64 v[20:21], v[102:103], s[22:23], -v[216:217]
	s_delay_alu instid0(VALU_DEP_1) | instskip(SKIP_1) | instid1(VALU_DEP_1)
	v_add_f64_e32 v[18:19], v[20:21], v[18:19]
	v_fma_f64 v[20:21], v[112:113], s[34:35], v[218:219]
	v_add_f64_e32 v[6:7], v[20:21], v[6:7]
	v_fma_f64 v[20:21], v[114:115], s[34:35], -v[220:221]
	v_mul_f64_e32 v[220:221], s[52:53], v[144:145]
	v_mul_f64_e32 v[144:145], s[50:51], v[144:145]
	s_delay_alu instid0(VALU_DEP_3) | instskip(SKIP_3) | instid1(VALU_DEP_3)
	v_add_f64_e32 v[18:19], v[20:21], v[18:19]
	v_fma_f64 v[20:21], v[120:121], s[18:19], v[222:223]
	v_mul_f64_e32 v[222:223], s[2:3], v[118:119]
	v_mul_f64_e32 v[118:119], s[20:21], v[118:119]
	v_add_f64_e32 v[6:7], v[20:21], v[6:7]
	v_fma_f64 v[20:21], v[122:123], s[18:19], -v[224:225]
	v_mul_f64_e32 v[224:225], s[2:3], v[116:117]
	v_mul_f64_e32 v[116:117], s[20:21], v[116:117]
	s_delay_alu instid0(VALU_DEP_3) | instskip(SKIP_3) | instid1(VALU_DEP_3)
	v_add_f64_e32 v[18:19], v[20:21], v[18:19]
	v_fma_f64 v[20:21], v[128:129], s[38:39], v[226:227]
	v_mul_f64_e32 v[226:227], s[36:37], v[126:127]
	v_mul_f64_e32 v[126:127], s[48:49], v[126:127]
	v_add_f64_e32 v[6:7], v[20:21], v[6:7]
	v_fma_f64 v[20:21], v[130:131], s[38:39], -v[228:229]
	v_mul_f64_e32 v[228:229], s[36:37], v[124:125]
	v_mul_f64_e32 v[124:125], s[48:49], v[124:125]
	s_delay_alu instid0(VALU_DEP_3) | instskip(SKIP_3) | instid1(VALU_DEP_4)
	v_add_f64_e32 v[18:19], v[20:21], v[18:19]
	v_fma_f64 v[20:21], v[132:133], s[28:29], v[230:231]
	v_mul_f64_e32 v[230:231], s[50:51], v[138:139]
	v_mul_f64_e32 v[138:139], s[42:43], v[138:139]
	v_add_f64_e32 v[218:219], v[16:17], v[18:19]
	s_delay_alu instid0(VALU_DEP_4) | instskip(SKIP_2) | instid1(VALU_DEP_2)
	v_add_f64_e32 v[216:217], v[20:21], v[6:7]
	v_mul_f64_e32 v[6:7], s[48:49], v[154:155]
	v_mul_f64_e32 v[18:19], s[48:49], v[152:153]
	v_fma_f64 v[16:17], v[96:97], s[28:29], -v[6:7]
	s_delay_alu instid0(VALU_DEP_2) | instskip(SKIP_2) | instid1(VALU_DEP_4)
	v_fma_f64 v[20:21], v[98:99], s[28:29], v[18:19]
	v_fma_f64 v[6:7], v[96:97], s[28:29], v[6:7]
	v_fma_f64 v[18:19], v[98:99], s[28:29], -v[18:19]
	v_add_f64_e32 v[16:17], v[16:17], v[202:203]
	s_delay_alu instid0(VALU_DEP_4) | instskip(NEXT) | instid1(VALU_DEP_4)
	v_add_f64_e32 v[20:21], v[20:21], v[200:201]
	v_add_f64_e32 v[6:7], v[6:7], v[174:175]
	s_delay_alu instid0(VALU_DEP_4) | instskip(NEXT) | instid1(VALU_DEP_4)
	v_add_f64_e32 v[18:19], v[18:19], v[170:171]
	v_add_f64_e32 v[16:17], v[24:25], v[16:17]
	v_mul_f64_e32 v[24:25], s[30:31], v[148:149]
	s_delay_alu instid0(VALU_DEP_1) | instskip(NEXT) | instid1(VALU_DEP_1)
	v_fma_f64 v[26:27], v[106:107], s[34:35], v[24:25]
	v_add_f64_e32 v[20:21], v[26:27], v[20:21]
	v_mul_f64_e32 v[26:27], s[52:53], v[146:147]
	s_delay_alu instid0(VALU_DEP_1) | instskip(NEXT) | instid1(VALU_DEP_1)
	v_fma_f64 v[200:201], v[100:101], s[26:27], -v[26:27]
	v_add_f64_e32 v[16:17], v[200:201], v[16:17]
	v_fma_f64 v[200:201], v[102:103], s[26:27], v[220:221]
	s_delay_alu instid0(VALU_DEP_1) | instskip(SKIP_1) | instid1(VALU_DEP_1)
	v_add_f64_e32 v[20:21], v[200:201], v[20:21]
	v_fma_f64 v[200:201], v[112:113], s[8:9], -v[222:223]
	v_add_f64_e32 v[16:17], v[200:201], v[16:17]
	v_fma_f64 v[200:201], v[114:115], s[8:9], v[224:225]
	s_delay_alu instid0(VALU_DEP_1) | instskip(SKIP_1) | instid1(VALU_DEP_1)
	v_add_f64_e32 v[20:21], v[200:201], v[20:21]
	;; [unrolled: 5-line block ×4, first 2 shown]
	v_fma_f64 v[200:201], v[132:133], s[40:41], -v[234:235]
	v_add_f64_e32 v[200:201], v[200:201], v[16:17]
	v_mul_f64_e32 v[16:17], s[42:43], v[140:141]
	v_mul_f64_e32 v[140:141], s[58:59], v[140:141]
	s_delay_alu instid0(VALU_DEP_2) | instskip(SKIP_1) | instid1(VALU_DEP_2)
	v_fma_f64 v[202:203], v[134:135], s[40:41], v[16:17]
	v_fma_f64 v[16:17], v[134:135], s[40:41], -v[16:17]
	v_add_f64_e32 v[202:203], v[202:203], v[20:21]
	v_fma_f64 v[20:21], v[104:105], s[34:35], v[22:23]
	v_mul_f64_e32 v[22:23], s[16:17], v[150:151]
	s_delay_alu instid0(VALU_DEP_2) | instskip(SKIP_1) | instid1(VALU_DEP_3)
	v_add_f64_e32 v[6:7], v[20:21], v[6:7]
	v_fma_f64 v[20:21], v[106:107], s[34:35], -v[24:25]
	v_fma_f64 v[24:25], v[104:105], s[22:23], -v[22:23]
	s_delay_alu instid0(VALU_DEP_2) | instskip(SKIP_1) | instid1(VALU_DEP_1)
	v_add_f64_e32 v[18:19], v[20:21], v[18:19]
	v_fma_f64 v[20:21], v[100:101], s[26:27], v[26:27]
	v_add_f64_e32 v[6:7], v[20:21], v[6:7]
	v_fma_f64 v[20:21], v[102:103], s[26:27], -v[220:221]
	s_delay_alu instid0(VALU_DEP_1) | instskip(SKIP_1) | instid1(VALU_DEP_1)
	v_add_f64_e32 v[18:19], v[20:21], v[18:19]
	v_fma_f64 v[20:21], v[112:113], s[8:9], v[222:223]
	v_add_f64_e32 v[6:7], v[20:21], v[6:7]
	v_fma_f64 v[20:21], v[114:115], s[8:9], -v[224:225]
	s_delay_alu instid0(VALU_DEP_1) | instskip(SKIP_1) | instid1(VALU_DEP_1)
	;; [unrolled: 5-line block ×3, first 2 shown]
	v_add_f64_e32 v[18:19], v[20:21], v[18:19]
	v_fma_f64 v[20:21], v[128:129], s[18:19], v[230:231]
	v_add_f64_e32 v[6:7], v[20:21], v[6:7]
	v_fma_f64 v[20:21], v[130:131], s[18:19], -v[232:233]
	s_delay_alu instid0(VALU_DEP_1) | instskip(SKIP_1) | instid1(VALU_DEP_2)
	v_add_f64_e32 v[18:19], v[20:21], v[18:19]
	v_fma_f64 v[20:21], v[132:133], s[40:41], v[234:235]
	v_add_f64_e32 v[222:223], v[16:17], v[18:19]
	s_delay_alu instid0(VALU_DEP_2) | instskip(SKIP_2) | instid1(VALU_DEP_2)
	v_add_f64_e32 v[220:221], v[20:21], v[6:7]
	v_mul_f64_e32 v[6:7], s[46:47], v[154:155]
	v_mul_f64_e32 v[18:19], s[46:47], v[152:153]
	v_fma_f64 v[16:17], v[96:97], s[8:9], -v[6:7]
	s_delay_alu instid0(VALU_DEP_2) | instskip(SKIP_1) | instid1(VALU_DEP_3)
	v_fma_f64 v[20:21], v[98:99], s[8:9], v[18:19]
	v_fma_f64 v[6:7], v[96:97], s[8:9], v[6:7]
	v_add_f64_e32 v[16:17], v[16:17], v[166:167]
	s_delay_alu instid0(VALU_DEP_3) | instskip(NEXT) | instid1(VALU_DEP_3)
	v_add_f64_e32 v[20:21], v[20:21], v[164:165]
	v_add_f64_e32 v[6:7], v[6:7], v[162:163]
	s_delay_alu instid0(VALU_DEP_3) | instskip(SKIP_1) | instid1(VALU_DEP_1)
	v_add_f64_e32 v[16:17], v[24:25], v[16:17]
	v_mul_f64_e32 v[24:25], s[16:17], v[148:149]
	v_fma_f64 v[26:27], v[106:107], s[22:23], v[24:25]
	s_delay_alu instid0(VALU_DEP_1) | instskip(SKIP_1) | instid1(VALU_DEP_1)
	v_add_f64_e32 v[20:21], v[26:27], v[20:21]
	v_mul_f64_e32 v[26:27], s[50:51], v[146:147]
	v_fma_f64 v[146:147], v[100:101], s[18:19], -v[26:27]
	s_delay_alu instid0(VALU_DEP_1) | instskip(SKIP_1) | instid1(VALU_DEP_1)
	v_add_f64_e32 v[16:17], v[146:147], v[16:17]
	v_fma_f64 v[146:147], v[102:103], s[18:19], v[144:145]
	v_add_f64_e32 v[20:21], v[146:147], v[20:21]
	v_fma_f64 v[146:147], v[112:113], s[26:27], -v[118:119]
	s_delay_alu instid0(VALU_DEP_1) | instskip(SKIP_1) | instid1(VALU_DEP_1)
	v_add_f64_e32 v[16:17], v[146:147], v[16:17]
	v_fma_f64 v[146:147], v[114:115], s[26:27], v[116:117]
	v_add_f64_e32 v[20:21], v[146:147], v[20:21]
	;; [unrolled: 5-line block ×5, first 2 shown]
	v_fma_f64 v[16:17], v[98:99], s[8:9], -v[18:19]
	v_fma_f64 v[18:19], v[104:105], s[22:23], v[22:23]
	v_fma_f64 v[20:21], v[134:135], s[34:35], -v[140:141]
	s_delay_alu instid0(VALU_DEP_3) | instskip(NEXT) | instid1(VALU_DEP_3)
	v_add_f64_e32 v[16:17], v[16:17], v[160:161]
	v_add_f64_e32 v[6:7], v[18:19], v[6:7]
	v_fma_f64 v[18:19], v[106:107], s[22:23], -v[24:25]
	s_delay_alu instid0(VALU_DEP_1) | instskip(SKIP_4) | instid1(VALU_DEP_1)
	v_add_f64_e32 v[16:17], v[18:19], v[16:17]
	v_fma_f64 v[18:19], v[100:101], s[18:19], v[26:27]
	scratch_load_b128 v[24:27], off, off offset:76 ; 16-byte Folded Reload
	v_add_f64_e32 v[6:7], v[18:19], v[6:7]
	v_fma_f64 v[18:19], v[102:103], s[18:19], -v[144:145]
	v_add_f64_e32 v[16:17], v[18:19], v[16:17]
	v_fma_f64 v[18:19], v[112:113], s[26:27], v[118:119]
	s_delay_alu instid0(VALU_DEP_1) | instskip(SKIP_1) | instid1(VALU_DEP_1)
	v_add_f64_e32 v[6:7], v[18:19], v[6:7]
	v_fma_f64 v[18:19], v[114:115], s[26:27], -v[116:117]
	v_add_f64_e32 v[16:17], v[18:19], v[16:17]
	v_fma_f64 v[18:19], v[120:121], s[28:29], v[126:127]
	s_delay_alu instid0(VALU_DEP_1) | instskip(SKIP_1) | instid1(VALU_DEP_1)
	;; [unrolled: 5-line block ×3, first 2 shown]
	v_add_f64_e32 v[6:7], v[18:19], v[6:7]
	v_fma_f64 v[18:19], v[130:131], s[40:41], -v[136:137]
	v_add_f64_e32 v[16:17], v[18:19], v[16:17]
	v_fma_f64 v[18:19], v[132:133], s[34:35], v[142:143]
	s_wait_loadcnt 0x0
	v_add_f64_e32 v[126:127], v[60:61], v[24:25]
	v_add_f64_e32 v[138:139], v[62:63], v[26:27]
	s_delay_alu instid0(VALU_DEP_4) | instskip(NEXT) | instid1(VALU_DEP_4)
	v_add_f64_e32 v[230:231], v[20:21], v[16:17]
	v_add_f64_e32 v[228:229], v[18:19], v[6:7]
	v_fma_f64 v[6:7], v[96:97], s[26:27], v[236:237]
	v_fma_f64 v[16:17], v[98:99], s[26:27], -v[238:239]
	v_fma_f64 v[18:19], v[104:105], s[38:39], v[240:241]
	s_clause 0x1
	scratch_load_b128 v[20:23], off, off offset:60
	scratch_load_b128 v[236:239], off, off offset:108
	v_add_f64_e32 v[6:7], v[6:7], v[158:159]
	v_add_f64_e32 v[16:17], v[16:17], v[156:157]
	s_delay_alu instid0(VALU_DEP_2) | instskip(SKIP_1) | instid1(VALU_DEP_1)
	v_add_f64_e32 v[6:7], v[18:19], v[6:7]
	v_fma_f64 v[18:19], v[106:107], s[38:39], -v[242:243]
	v_add_f64_e32 v[16:17], v[18:19], v[16:17]
	v_fma_f64 v[18:19], v[100:101], s[40:41], v[246:247]
	s_delay_alu instid0(VALU_DEP_1) | instskip(SKIP_1) | instid1(VALU_DEP_1)
	v_add_f64_e32 v[6:7], v[18:19], v[6:7]
	v_fma_f64 v[18:19], v[102:103], s[40:41], -v[248:249]
	v_add_f64_e32 v[16:17], v[18:19], v[16:17]
	v_fma_f64 v[18:19], v[112:113], s[18:19], v[250:251]
	s_delay_alu instid0(VALU_DEP_1) | instskip(SKIP_1) | instid1(VALU_DEP_1)
	v_add_f64_e32 v[6:7], v[18:19], v[6:7]
	v_fma_f64 v[18:19], v[114:115], s[18:19], -v[252:253]
	v_add_f64_e32 v[16:17], v[18:19], v[16:17]
	v_fma_f64 v[18:19], v[120:121], s[8:9], v[244:245]
	s_delay_alu instid0(VALU_DEP_2) | instskip(NEXT) | instid1(VALU_DEP_2)
	v_add_f64_e32 v[4:5], v[4:5], v[16:17]
	v_add_f64_e32 v[6:7], v[18:19], v[6:7]
	scratch_load_b128 v[16:19], off, off offset:44 ; 16-byte Folded Reload
	s_wait_loadcnt 0x2
	v_add_f64_e64 v[136:137], v[58:59], -v[22:23]
	v_add_f64_e64 v[142:143], v[56:57], -v[20:21]
	v_add_f64_e32 v[146:147], v[58:59], v[22:23]
	s_wait_loadcnt 0x1
	v_add_f64_e64 v[116:117], v[52:53], -v[236:237]
	v_add_f64_e32 v[118:119], v[54:55], v[238:239]
	v_add_f64_e32 v[6:7], v[8:9], v[6:7]
	v_fma_f64 v[8:9], v[130:131], s[34:35], -v[12:13]
	v_fma_f64 v[12:13], v[100:101], s[38:39], v[180:181]
	v_add_f64_e64 v[100:101], v[38:39], -v[34:35]
	v_mul_f64_e32 v[154:155], s[24:25], v[136:137]
	v_mul_f64_e32 v[160:161], s[24:25], v[142:143]
	;; [unrolled: 1-line block ×3, first 2 shown]
	v_add_f64_e32 v[4:5], v[8:9], v[4:5]
	v_fma_f64 v[8:9], v[132:133], s[22:23], v[14:15]
	v_fma_f64 v[14:15], v[102:103], s[38:39], -v[182:183]
	v_add_f64_e32 v[102:103], v[40:41], v[28:29]
	s_delay_alu instid0(VALU_DEP_4) | instskip(NEXT) | instid1(VALU_DEP_4)
	v_add_f64_e32 v[234:235], v[10:11], v[4:5]
	v_add_f64_e32 v[232:233], v[8:9], v[6:7]
	v_fma_f64 v[4:5], v[96:97], s[34:35], v[168:169]
	v_fma_f64 v[6:7], v[98:99], s[34:35], -v[172:173]
	v_fma_f64 v[8:9], v[104:105], s[26:27], v[176:177]
	v_fma_f64 v[10:11], v[106:107], s[26:27], -v[178:179]
	v_add_f64_e64 v[106:107], v[42:43], -v[30:31]
	v_add_f64_e32 v[96:97], v[36:37], v[32:33]
	v_mul_f64_e32 v[172:173], s[36:37], v[100:101]
	v_add_f64_e64 v[98:99], v[36:37], -v[32:33]
	v_add_f64_e32 v[104:105], v[38:39], v[34:35]
	v_add_f64_e32 v[4:5], v[4:5], v[108:109]
	;; [unrolled: 1-line block ×3, first 2 shown]
	v_add_f64_e64 v[108:109], v[40:41], -v[28:29]
	v_add_f64_e32 v[110:111], v[42:43], v[30:31]
	v_mul_f64_e32 v[168:169], s[16:17], v[106:107]
	v_mul_f64_e32 v[178:179], s[36:37], v[98:99]
	v_add_f64_e32 v[4:5], v[8:9], v[4:5]
	v_add_f64_e32 v[6:7], v[10:11], v[6:7]
	v_fma_f64 v[8:9], v[112:113], s[22:23], v[184:185]
	v_fma_f64 v[10:11], v[114:115], s[22:23], -v[186:187]
	v_add_f64_e64 v[114:115], v[54:55], -v[238:239]
	v_add_f64_e32 v[112:113], v[52:53], v[236:237]
	v_mul_f64_e32 v[176:177], s[16:17], v[108:109]
	v_add_f64_e32 v[4:5], v[12:13], v[4:5]
	v_add_f64_e32 v[6:7], v[14:15], v[6:7]
	scratch_load_b128 v[12:15], off, off offset:28 ; 16-byte Folded Reload
	v_mul_f64_e32 v[166:167], s[20:21], v[114:115]
	v_add_f64_e32 v[4:5], v[8:9], v[4:5]
	v_add_f64_e32 v[6:7], v[10:11], v[6:7]
	v_fma_f64 v[8:9], v[120:121], s[40:41], v[188:189]
	v_fma_f64 v[10:11], v[122:123], s[40:41], -v[190:191]
	s_delay_alu instid0(VALU_DEP_2) | instskip(NEXT) | instid1(VALU_DEP_2)
	v_add_f64_e32 v[4:5], v[8:9], v[4:5]
	v_add_f64_e32 v[6:7], v[10:11], v[6:7]
	v_fma_f64 v[8:9], v[128:129], s[28:29], v[192:193]
	v_fma_f64 v[10:11], v[130:131], s[28:29], -v[194:195]
	v_add_f64_e64 v[128:129], v[62:63], -v[26:27]
	s_wait_loadcnt 0x1
	v_add_f64_e64 v[144:145], v[50:51], -v[18:19]
	v_add_f64_e32 v[140:141], v[48:49], v[16:17]
	v_add_f64_e64 v[148:149], v[48:49], -v[16:17]
	v_add_f64_e32 v[150:151], v[50:51], v[18:19]
	v_add_f64_e32 v[4:5], v[8:9], v[4:5]
	;; [unrolled: 1-line block ×3, first 2 shown]
	v_fma_f64 v[8:9], v[132:133], s[8:9], v[196:197]
	v_fma_f64 v[10:11], v[134:135], s[8:9], -v[198:199]
	scratch_load_b128 v[196:199], off, off offset:92 ; 16-byte Folded Reload
	v_add_f64_e32 v[134:135], v[56:57], v[20:21]
	v_mul_f64_e32 v[158:159], s[30:31], v[128:129]
	v_add_f64_e64 v[132:133], v[60:61], -v[24:25]
	v_mul_f64_e32 v[152:153], s[14:15], v[144:145]
	v_mul_f64_e32 v[156:157], s[14:15], v[148:149]
	v_add_f64_e32 v[192:193], v[8:9], v[4:5]
	v_add_f64_e32 v[194:195], v[10:11], v[6:7]
	v_mul_f64_e32 v[164:165], s[30:31], v[132:133]
	v_fma_f64 v[6:7], v[140:141], s[18:19], v[152:153]
	v_fma_f64 v[8:9], v[150:151], s[18:19], -v[156:157]
	s_wait_loadcnt 0x1
	v_add_f64_e64 v[184:185], v[46:47], -v[14:15]
	v_add_f64_e32 v[180:181], v[44:45], v[12:13]
	v_add_f64_e64 v[188:189], v[44:45], -v[12:13]
	v_add_f64_e32 v[186:187], v[46:47], v[14:15]
	s_delay_alu instid0(VALU_DEP_4) | instskip(NEXT) | instid1(VALU_DEP_3)
	v_mul_f64_e32 v[182:183], s[2:3], v[184:185]
	v_mul_f64_e32 v[190:191], s[2:3], v[188:189]
	s_delay_alu instid0(VALU_DEP_2) | instskip(NEXT) | instid1(VALU_DEP_1)
	v_fma_f64 v[4:5], v[180:181], s[8:9], v[182:183]
	v_add_f64_e32 v[4:5], v[0:1], v[4:5]
	s_wait_loadcnt 0x0
	v_add_f64_e64 v[122:123], v[66:67], -v[198:199]
	v_add_f64_e32 v[120:121], v[64:65], v[196:197]
	v_add_f64_e64 v[124:125], v[64:65], -v[196:197]
	v_add_f64_e32 v[130:131], v[66:67], v[198:199]
	v_add_f64_e32 v[4:5], v[6:7], v[4:5]
	v_fma_f64 v[6:7], v[186:187], s[8:9], -v[190:191]
	v_mul_f64_e32 v[162:163], s[42:43], v[122:123]
	v_mul_f64_e32 v[170:171], s[42:43], v[124:125]
	s_delay_alu instid0(VALU_DEP_3) | instskip(NEXT) | instid1(VALU_DEP_1)
	v_add_f64_e32 v[6:7], v[2:3], v[6:7]
	v_add_f64_e32 v[6:7], v[8:9], v[6:7]
	v_fma_f64 v[8:9], v[134:135], s[28:29], v[154:155]
	s_delay_alu instid0(VALU_DEP_1) | instskip(SKIP_1) | instid1(VALU_DEP_1)
	v_add_f64_e32 v[4:5], v[8:9], v[4:5]
	v_fma_f64 v[8:9], v[146:147], s[28:29], -v[160:161]
	v_add_f64_e32 v[6:7], v[8:9], v[6:7]
	v_fma_f64 v[8:9], v[126:127], s[34:35], v[158:159]
	s_delay_alu instid0(VALU_DEP_1) | instskip(SKIP_1) | instid1(VALU_DEP_1)
	v_add_f64_e32 v[4:5], v[8:9], v[4:5]
	v_fma_f64 v[8:9], v[138:139], s[34:35], -v[164:165]
	;; [unrolled: 5-line block ×6, first 2 shown]
	v_add_f64_e32 v[10:11], v[4:5], v[6:7]
	scratch_load_b32 v5, off, off           ; 4-byte Folded Reload
	scratch_store_b128 off, v[8:11], off offset:12 ; 16-byte Folded Spill
	global_wb scope:SCOPE_SE
	s_wait_loadcnt 0x0
	s_wait_storecnt 0x0
	s_wait_kmcnt 0x0
	s_barrier_signal -1
	s_barrier_wait -1
	global_inv scope:SCOPE_SE
	v_mul_lo_u16 v4, v5, 17
	s_delay_alu instid0(VALU_DEP_1) | instskip(NEXT) | instid1(VALU_DEP_1)
	v_and_b32_e32 v4, 0xffff, v4
	v_lshlrev_b32_e32 v255, 4, v4
	ds_store_b128 v255, v[72:75]
	ds_store_b128 v255, v[76:79] offset:16
	ds_store_b128 v255, v[80:83] offset:32
	;; [unrolled: 1-line block ×16, first 2 shown]
	v_add_co_u32 v234, s33, v5, 51
	s_delay_alu instid0(VALU_DEP_1)
	v_add_co_ci_u32_e64 v4, null, 0, 0, s33
	s_and_saveexec_b32 s33, vcc_lo
	s_cbranch_execz .LBB0_7
; %bb.6:
	v_add_f64_e32 v[4:5], v[2:3], v[46:47]
	v_add_f64_e32 v[6:7], v[0:1], v[44:45]
	v_mul_f64_e32 v[44:45], s[42:43], v[184:185]
	v_mul_f64_e32 v[46:47], s[30:31], v[184:185]
	;; [unrolled: 1-line block ×10, first 2 shown]
	v_add_f64_e32 v[4:5], v[4:5], v[50:51]
	v_add_f64_e32 v[6:7], v[6:7], v[48:49]
	v_mul_f64_e32 v[48:49], s[24:25], v[184:185]
	v_mul_f64_e32 v[50:51], s[14:15], v[184:185]
	v_fma_f64 v[210:211], v[126:127], s[28:29], v[202:203]
	v_fma_f64 v[202:203], v[126:127], s[28:29], -v[202:203]
	v_fma_f64 v[212:213], v[126:127], s[8:9], -v[204:205]
	v_fma_f64 v[204:205], v[126:127], s[8:9], v[204:205]
	v_fma_f64 v[214:215], v[126:127], s[40:41], -v[206:207]
	v_fma_f64 v[206:207], v[126:127], s[40:41], v[206:207]
	v_fma_f64 v[226:227], v[124:125], s[54:55], v[218:219]
	v_fma_f64 v[218:219], v[124:125], s[36:37], v[218:219]
	v_fma_f64 v[228:229], v[124:125], s[48:49], v[220:221]
	v_fma_f64 v[220:221], v[124:125], s[24:25], v[220:221]
	v_fma_f64 v[230:231], v[124:125], s[50:51], v[222:223]
	v_fma_f64 v[222:223], v[124:125], s[14:15], v[222:223]
	v_add_f64_e32 v[4:5], v[4:5], v[58:59]
	v_add_f64_e32 v[6:7], v[6:7], v[56:57]
	v_fma_f64 v[58:59], v[180:181], s[40:41], v[44:45]
	v_fma_f64 v[44:45], v[180:181], s[40:41], -v[44:45]
	s_delay_alu instid0(VALU_DEP_4) | instskip(NEXT) | instid1(VALU_DEP_4)
	v_add_f64_e32 v[4:5], v[4:5], v[62:63]
	v_add_f64_e32 v[6:7], v[6:7], v[60:61]
	v_fma_f64 v[60:61], v[180:181], s[34:35], v[46:47]
	v_fma_f64 v[46:47], v[180:181], s[34:35], -v[46:47]
	v_fma_f64 v[62:63], v[180:181], s[28:29], v[48:49]
	v_fma_f64 v[48:49], v[180:181], s[28:29], -v[48:49]
	v_add_f64_e32 v[58:59], v[0:1], v[58:59]
	v_add_f64_e32 v[44:45], v[0:1], v[44:45]
	;; [unrolled: 1-line block ×4, first 2 shown]
	v_mul_f64_e32 v[66:67], s[8:9], v[180:181]
	v_fma_f64 v[64:65], v[180:181], s[18:19], v[50:51]
	v_fma_f64 v[50:51], v[180:181], s[18:19], -v[50:51]
	v_add_f64_e32 v[60:61], v[0:1], v[60:61]
	v_add_f64_e32 v[46:47], v[0:1], v[46:47]
	;; [unrolled: 1-line block ×6, first 2 shown]
	v_add_f64_e64 v[66:67], v[66:67], -v[182:183]
	v_add_f64_e32 v[64:65], v[0:1], v[64:65]
	v_add_f64_e32 v[50:51], v[0:1], v[50:51]
	;; [unrolled: 1-line block ×4, first 2 shown]
	v_mul_f64_e32 v[40:41], s[16:17], v[184:185]
	v_mul_f64_e32 v[42:43], s[20:21], v[184:185]
	s_delay_alu instid0(VALU_DEP_4) | instskip(NEXT) | instid1(VALU_DEP_4)
	v_add_f64_e32 v[4:5], v[4:5], v[38:39]
	v_add_f64_e32 v[6:7], v[6:7], v[36:37]
	v_mul_f64_e32 v[38:39], s[36:37], v[184:185]
	v_fma_f64 v[54:55], v[180:181], s[22:23], v[40:41]
	v_fma_f64 v[40:41], v[180:181], s[22:23], -v[40:41]
	v_fma_f64 v[56:57], v[180:181], s[26:27], v[42:43]
	v_fma_f64 v[42:43], v[180:181], s[26:27], -v[42:43]
	v_mul_f64_e32 v[36:37], s[8:9], v[186:187]
	v_add_f64_e32 v[4:5], v[4:5], v[34:35]
	v_add_f64_e32 v[6:7], v[6:7], v[32:33]
	v_fma_f64 v[52:53], v[180:181], s[38:39], v[38:39]
	v_fma_f64 v[38:39], v[180:181], s[38:39], -v[38:39]
	v_mul_f64_e32 v[32:33], s[18:19], v[186:187]
	v_add_f64_e32 v[54:55], v[0:1], v[54:55]
	v_add_f64_e32 v[40:41], v[0:1], v[40:41]
	;; [unrolled: 1-line block ×5, first 2 shown]
	v_mul_f64_e32 v[190:191], s[40:41], v[138:139]
	v_add_f64_e32 v[4:5], v[4:5], v[30:31]
	v_add_f64_e32 v[6:7], v[6:7], v[28:29]
	v_mul_f64_e32 v[28:29], s[28:29], v[186:187]
	v_add_f64_e32 v[52:53], v[0:1], v[52:53]
	v_add_f64_e32 v[38:39], v[0:1], v[38:39]
	v_fma_f64 v[34:35], v[188:189], s[50:51], v[32:33]
	v_fma_f64 v[32:33], v[188:189], s[14:15], v[32:33]
	v_add_f64_e32 v[4:5], v[4:5], v[238:239]
	v_add_f64_e32 v[6:7], v[6:7], v[236:237]
	v_fma_f64 v[30:31], v[188:189], s[48:49], v[28:29]
	v_fma_f64 v[28:29], v[188:189], s[24:25], v[28:29]
	v_add_f64_e32 v[34:35], v[2:3], v[34:35]
	v_add_f64_e32 v[32:33], v[2:3], v[32:33]
	;; [unrolled: 1-line block ×6, first 2 shown]
	v_fma_f64 v[198:199], v[132:133], s[56:57], v[190:191]
	v_fma_f64 v[190:191], v[132:133], s[42:43], v[190:191]
	v_add_f64_e32 v[4:5], v[4:5], v[26:27]
	v_add_f64_e32 v[6:7], v[6:7], v[24:25]
	v_mul_f64_e32 v[24:25], s[34:35], v[186:187]
	s_delay_alu instid0(VALU_DEP_3) | instskip(NEXT) | instid1(VALU_DEP_3)
	v_add_f64_e32 v[4:5], v[4:5], v[22:23]
	v_add_f64_e32 v[6:7], v[6:7], v[20:21]
	v_mul_f64_e32 v[20:21], s[40:41], v[186:187]
	s_delay_alu instid0(VALU_DEP_4)
	v_fma_f64 v[26:27], v[188:189], s[58:59], v[24:25]
	v_fma_f64 v[24:25], v[188:189], s[30:31], v[24:25]
	v_add_f64_e32 v[4:5], v[4:5], v[18:19]
	v_add_f64_e32 v[8:9], v[6:7], v[16:17]
	v_mul_f64_e32 v[16:17], s[26:27], v[186:187]
	v_fma_f64 v[22:23], v[188:189], s[56:57], v[20:21]
	v_fma_f64 v[20:21], v[188:189], s[42:43], v[20:21]
	v_add_f64_e32 v[26:27], v[2:3], v[26:27]
	v_add_f64_e32 v[24:25], v[2:3], v[24:25]
	;; [unrolled: 1-line block ×4, first 2 shown]
	v_mul_f64_e32 v[12:13], s[22:23], v[186:187]
	v_mul_f64_e32 v[8:9], s[38:39], v[186:187]
	v_fma_f64 v[18:19], v[188:189], s[52:53], v[16:17]
	v_fma_f64 v[16:17], v[188:189], s[20:21], v[16:17]
	v_add_f64_e32 v[74:75], v[2:3], v[22:23]
	v_add_f64_e32 v[22:23], v[0:1], v[66:67]
	;; [unrolled: 1-line block ×4, first 2 shown]
	v_mul_f64_e32 v[186:187], s[28:29], v[138:139]
	v_fma_f64 v[14:15], v[188:189], s[44:45], v[12:13]
	v_fma_f64 v[12:13], v[188:189], s[16:17], v[12:13]
	;; [unrolled: 1-line block ×3, first 2 shown]
	v_add_f64_e32 v[72:73], v[2:3], v[16:17]
	v_mul_f64_e32 v[16:17], s[22:23], v[146:147]
	v_fma_f64 v[8:9], v[188:189], s[36:37], v[8:9]
	v_add_f64_e32 v[70:71], v[2:3], v[18:19]
	v_mul_f64_e32 v[188:189], s[8:9], v[138:139]
	v_fma_f64 v[194:195], v[132:133], s[48:49], v[186:187]
	v_fma_f64 v[186:187], v[132:133], s[24:25], v[186:187]
	v_add_f64_e32 v[14:15], v[2:3], v[14:15]
	v_add_f64_e32 v[68:69], v[2:3], v[12:13]
	v_mul_f64_e32 v[12:13], s[8:9], v[150:151]
	v_add_f64_e32 v[10:11], v[2:3], v[10:11]
	v_fma_f64 v[18:19], v[142:143], s[44:45], v[16:17]
	v_add_f64_e32 v[8:9], v[2:3], v[8:9]
	v_fma_f64 v[196:197], v[132:133], s[46:47], v[188:189]
	v_fma_f64 v[188:189], v[132:133], s[2:3], v[188:189]
	;; [unrolled: 1-line block ×4, first 2 shown]
	s_delay_alu instid0(VALU_DEP_2) | instskip(SKIP_1) | instid1(VALU_DEP_3)
	v_add_f64_e32 v[0:1], v[0:1], v[10:11]
	v_mul_f64_e32 v[10:11], s[46:47], v[144:145]
	v_add_f64_e32 v[8:9], v[12:13], v[8:9]
	v_fma_f64 v[12:13], v[142:143], s[16:17], v[16:17]
	v_fma_f64 v[16:17], v[96:97], s[34:35], -v[92:93]
	v_add_f64_e32 v[0:1], v[18:19], v[0:1]
	v_fma_f64 v[2:3], v[140:141], s[8:9], v[10:11]
	v_mul_f64_e32 v[18:19], s[16:17], v[136:137]
	v_fma_f64 v[10:11], v[140:141], s[8:9], -v[10:11]
	v_add_f64_e32 v[8:9], v[12:13], v[8:9]
	s_delay_alu instid0(VALU_DEP_4) | instskip(NEXT) | instid1(VALU_DEP_4)
	v_add_f64_e32 v[2:3], v[2:3], v[52:53]
	v_fma_f64 v[36:37], v[134:135], s[22:23], v[18:19]
	s_delay_alu instid0(VALU_DEP_4) | instskip(SKIP_2) | instid1(VALU_DEP_4)
	v_add_f64_e32 v[10:11], v[10:11], v[38:39]
	v_fma_f64 v[12:13], v[134:135], s[22:23], -v[18:19]
	v_mul_f64_e32 v[18:19], s[48:49], v[144:145]
	v_add_f64_e32 v[2:3], v[36:37], v[2:3]
	v_mul_f64_e32 v[36:37], s[18:19], v[138:139]
	s_delay_alu instid0(VALU_DEP_4) | instskip(NEXT) | instid1(VALU_DEP_2)
	v_add_f64_e32 v[10:11], v[12:13], v[10:11]
	v_fma_f64 v[52:53], v[132:133], s[14:15], v[36:37]
	v_fma_f64 v[12:13], v[132:133], s[50:51], v[36:37]
	v_mul_f64_e32 v[36:37], s[34:35], v[146:147]
	s_delay_alu instid0(VALU_DEP_3) | instskip(SKIP_1) | instid1(VALU_DEP_4)
	v_add_f64_e32 v[0:1], v[52:53], v[0:1]
	v_mul_f64_e32 v[52:53], s[50:51], v[128:129]
	v_add_f64_e32 v[8:9], v[12:13], v[8:9]
	s_delay_alu instid0(VALU_DEP_4) | instskip(SKIP_1) | instid1(VALU_DEP_4)
	v_fma_f64 v[38:39], v[142:143], s[58:59], v[36:37]
	v_fma_f64 v[36:37], v[142:143], s[30:31], v[36:37]
	;; [unrolled: 1-line block ×3, first 2 shown]
	v_fma_f64 v[12:13], v[126:127], s[18:19], -v[52:53]
	s_delay_alu instid0(VALU_DEP_2) | instskip(SKIP_1) | instid1(VALU_DEP_3)
	v_add_f64_e32 v[2:3], v[66:67], v[2:3]
	v_mul_f64_e32 v[66:67], s[26:27], v[130:131]
	v_add_f64_e32 v[10:11], v[12:13], v[10:11]
	s_delay_alu instid0(VALU_DEP_2) | instskip(SKIP_1) | instid1(VALU_DEP_2)
	v_fma_f64 v[78:79], v[124:125], s[52:53], v[66:67]
	v_fma_f64 v[12:13], v[124:125], s[20:21], v[66:67]
	v_add_f64_e32 v[0:1], v[78:79], v[0:1]
	v_mul_f64_e32 v[78:79], s[20:21], v[122:123]
	s_delay_alu instid0(VALU_DEP_3) | instskip(NEXT) | instid1(VALU_DEP_2)
	v_add_f64_e32 v[8:9], v[12:13], v[8:9]
	v_fma_f64 v[80:81], v[120:121], s[26:27], v[78:79]
	v_fma_f64 v[12:13], v[120:121], s[26:27], -v[78:79]
	s_delay_alu instid0(VALU_DEP_2) | instskip(SKIP_1) | instid1(VALU_DEP_3)
	v_add_f64_e32 v[2:3], v[80:81], v[2:3]
	v_mul_f64_e32 v[80:81], s[28:29], v[118:119]
	v_add_f64_e32 v[10:11], v[12:13], v[10:11]
	s_delay_alu instid0(VALU_DEP_2) | instskip(SKIP_1) | instid1(VALU_DEP_2)
	v_fma_f64 v[82:83], v[116:117], s[24:25], v[80:81]
	v_fma_f64 v[12:13], v[116:117], s[48:49], v[80:81]
	v_add_f64_e32 v[0:1], v[82:83], v[0:1]
	v_mul_f64_e32 v[82:83], s[48:49], v[114:115]
	s_delay_alu instid0(VALU_DEP_3) | instskip(NEXT) | instid1(VALU_DEP_2)
	v_add_f64_e32 v[8:9], v[12:13], v[8:9]
	v_fma_f64 v[84:85], v[112:113], s[28:29], v[82:83]
	v_fma_f64 v[12:13], v[112:113], s[28:29], -v[82:83]
	s_delay_alu instid0(VALU_DEP_2) | instskip(SKIP_1) | instid1(VALU_DEP_3)
	v_add_f64_e32 v[2:3], v[84:85], v[2:3]
	v_mul_f64_e32 v[84:85], s[40:41], v[110:111]
	v_add_f64_e32 v[10:11], v[12:13], v[10:11]
	s_delay_alu instid0(VALU_DEP_2) | instskip(SKIP_1) | instid1(VALU_DEP_2)
	v_fma_f64 v[86:87], v[108:109], s[56:57], v[84:85]
	v_fma_f64 v[12:13], v[108:109], s[42:43], v[84:85]
	v_add_f64_e32 v[0:1], v[86:87], v[0:1]
	v_mul_f64_e32 v[86:87], s[42:43], v[106:107]
	s_delay_alu instid0(VALU_DEP_3) | instskip(NEXT) | instid1(VALU_DEP_2)
	v_add_f64_e32 v[8:9], v[12:13], v[8:9]
	v_fma_f64 v[12:13], v[102:103], s[40:41], -v[86:87]
	v_fma_f64 v[88:89], v[102:103], s[40:41], v[86:87]
	s_delay_alu instid0(VALU_DEP_2) | instskip(SKIP_1) | instid1(VALU_DEP_3)
	v_add_f64_e32 v[12:13], v[12:13], v[10:11]
	v_fma_f64 v[10:11], v[98:99], s[58:59], v[90:91]
	v_add_f64_e32 v[88:89], v[88:89], v[2:3]
	v_fma_f64 v[2:3], v[98:99], s[30:31], v[90:91]
	v_mul_f64_e32 v[90:91], s[40:41], v[104:105]
	s_delay_alu instid0(VALU_DEP_4)
	v_add_f64_e32 v[10:11], v[10:11], v[8:9]
	v_add_f64_e32 v[8:9], v[16:17], v[12:13]
	v_mul_f64_e32 v[16:17], s[28:29], v[150:151]
	v_add_f64_e32 v[2:3], v[2:3], v[0:1]
	v_fma_f64 v[0:1], v[96:97], s[34:35], v[92:93]
	v_mul_f64_e32 v[92:93], s[42:43], v[100:101]
	s_delay_alu instid0(VALU_DEP_4) | instskip(SKIP_1) | instid1(VALU_DEP_4)
	v_fma_f64 v[12:13], v[148:149], s[24:25], v[16:17]
	v_fma_f64 v[16:17], v[148:149], s[48:49], v[16:17]
	v_add_f64_e32 v[0:1], v[0:1], v[88:89]
	s_delay_alu instid0(VALU_DEP_3) | instskip(SKIP_1) | instid1(VALU_DEP_4)
	v_add_f64_e32 v[12:13], v[12:13], v[14:15]
	v_fma_f64 v[14:15], v[140:141], s[28:29], v[18:19]
	v_add_f64_e32 v[16:17], v[16:17], v[68:69]
	v_fma_f64 v[18:19], v[140:141], s[28:29], -v[18:19]
	v_mul_f64_e32 v[68:69], s[40:41], v[130:131]
	v_add_f64_e32 v[12:13], v[38:39], v[12:13]
	v_mul_f64_e32 v[38:39], s[30:31], v[136:137]
	v_add_f64_e32 v[14:15], v[14:15], v[54:55]
	v_add_f64_e32 v[18:19], v[18:19], v[40:41]
	;; [unrolled: 1-line block ×3, first 2 shown]
	v_mul_f64_e32 v[40:41], s[28:29], v[146:147]
	v_add_f64_e32 v[68:69], v[170:171], v[68:69]
	v_mul_f64_e32 v[170:171], s[50:51], v[136:137]
	v_fma_f64 v[52:53], v[134:135], s[34:35], v[38:39]
	v_fma_f64 v[36:37], v[134:135], s[34:35], -v[38:39]
	v_fma_f64 v[38:39], v[96:97], s[40:41], -v[92:93]
	v_add_f64_e32 v[40:41], v[160:161], v[40:41]
	s_delay_alu instid0(VALU_DEP_4) | instskip(SKIP_2) | instid1(VALU_DEP_2)
	v_add_f64_e32 v[14:15], v[52:53], v[14:15]
	v_mul_f64_e32 v[52:53], s[26:27], v[138:139]
	v_add_f64_e32 v[18:19], v[36:37], v[18:19]
	v_fma_f64 v[54:55], v[132:133], s[20:21], v[52:53]
	v_fma_f64 v[36:37], v[132:133], s[52:53], v[52:53]
	v_mul_f64_e32 v[52:53], s[28:29], v[134:135]
	s_delay_alu instid0(VALU_DEP_3) | instskip(SKIP_1) | instid1(VALU_DEP_4)
	v_add_f64_e32 v[12:13], v[54:55], v[12:13]
	v_mul_f64_e32 v[54:55], s[52:53], v[128:129]
	v_add_f64_e32 v[16:17], v[36:37], v[16:17]
	s_delay_alu instid0(VALU_DEP_4) | instskip(SKIP_1) | instid1(VALU_DEP_4)
	v_add_f64_e64 v[52:53], v[52:53], -v[154:155]
	v_mul_f64_e32 v[154:155], s[18:19], v[146:147]
	v_fma_f64 v[66:67], v[126:127], s[26:27], v[54:55]
	v_fma_f64 v[36:37], v[126:127], s[26:27], -v[54:55]
	v_mul_f64_e32 v[54:55], s[34:35], v[138:139]
	s_delay_alu instid0(VALU_DEP_3) | instskip(SKIP_1) | instid1(VALU_DEP_4)
	v_add_f64_e32 v[14:15], v[66:67], v[14:15]
	v_mul_f64_e32 v[66:67], s[8:9], v[130:131]
	v_add_f64_e32 v[18:19], v[36:37], v[18:19]
	s_delay_alu instid0(VALU_DEP_4) | instskip(NEXT) | instid1(VALU_DEP_3)
	v_add_f64_e32 v[54:55], v[164:165], v[54:55]
	v_fma_f64 v[78:79], v[124:125], s[46:47], v[66:67]
	v_fma_f64 v[36:37], v[124:125], s[2:3], v[66:67]
	v_mul_f64_e32 v[66:67], s[34:35], v[126:127]
	s_delay_alu instid0(VALU_DEP_3) | instskip(SKIP_1) | instid1(VALU_DEP_4)
	v_add_f64_e32 v[12:13], v[78:79], v[12:13]
	v_mul_f64_e32 v[78:79], s[2:3], v[122:123]
	v_add_f64_e32 v[16:17], v[36:37], v[16:17]
	s_delay_alu instid0(VALU_DEP_4) | instskip(SKIP_1) | instid1(VALU_DEP_4)
	v_add_f64_e64 v[66:67], v[66:67], -v[158:159]
	v_mul_f64_e32 v[158:159], s[38:39], v[146:147]
	v_fma_f64 v[80:81], v[120:121], s[8:9], v[78:79]
	v_fma_f64 v[36:37], v[120:121], s[8:9], -v[78:79]
	v_mul_f64_e32 v[78:79], s[40:41], v[120:121]
	s_delay_alu instid0(VALU_DEP_3) | instskip(SKIP_1) | instid1(VALU_DEP_4)
	v_add_f64_e32 v[14:15], v[80:81], v[14:15]
	v_mul_f64_e32 v[80:81], s[38:39], v[118:119]
	v_add_f64_e32 v[18:19], v[36:37], v[18:19]
	s_delay_alu instid0(VALU_DEP_4)
	v_add_f64_e64 v[78:79], v[78:79], -v[162:163]
	v_fma_f64 v[162:163], v[142:143], s[14:15], v[154:155]
	v_fma_f64 v[154:155], v[142:143], s[50:51], v[154:155]
	;; [unrolled: 1-line block ×4, first 2 shown]
	v_mul_f64_e32 v[80:81], s[26:27], v[118:119]
	s_delay_alu instid0(VALU_DEP_3) | instskip(SKIP_1) | instid1(VALU_DEP_4)
	v_add_f64_e32 v[12:13], v[82:83], v[12:13]
	v_mul_f64_e32 v[82:83], s[36:37], v[114:115]
	v_add_f64_e32 v[16:17], v[36:37], v[16:17]
	s_delay_alu instid0(VALU_DEP_4) | instskip(SKIP_1) | instid1(VALU_DEP_4)
	v_add_f64_e32 v[80:81], v[174:175], v[80:81]
	v_mul_f64_e32 v[174:175], s[54:55], v[136:137]
	v_fma_f64 v[84:85], v[112:113], s[38:39], v[82:83]
	v_fma_f64 v[36:37], v[112:113], s[38:39], -v[82:83]
	s_delay_alu instid0(VALU_DEP_3) | instskip(SKIP_1) | instid1(VALU_DEP_4)
	v_fma_f64 v[182:183], v[134:135], s[38:39], -v[174:175]
	v_fma_f64 v[174:175], v[134:135], s[38:39], v[174:175]
	v_add_f64_e32 v[14:15], v[84:85], v[14:15]
	v_mul_f64_e32 v[84:85], s[18:19], v[110:111]
	v_add_f64_e32 v[18:19], v[36:37], v[18:19]
	s_delay_alu instid0(VALU_DEP_2) | instskip(SKIP_2) | instid1(VALU_DEP_3)
	v_fma_f64 v[86:87], v[108:109], s[14:15], v[84:85]
	v_fma_f64 v[36:37], v[108:109], s[50:51], v[84:85]
	v_mul_f64_e32 v[84:85], s[56:57], v[144:145]
	v_add_f64_e32 v[12:13], v[86:87], v[12:13]
	v_mul_f64_e32 v[86:87], s[50:51], v[106:107]
	s_delay_alu instid0(VALU_DEP_4) | instskip(NEXT) | instid1(VALU_DEP_4)
	v_add_f64_e32 v[16:17], v[36:37], v[16:17]
	v_fma_f64 v[94:95], v[140:141], s[40:41], v[84:85]
	v_fma_f64 v[84:85], v[140:141], s[40:41], -v[84:85]
	s_delay_alu instid0(VALU_DEP_4)
	v_fma_f64 v[36:37], v[102:103], s[18:19], -v[86:87]
	v_fma_f64 v[88:89], v[102:103], s[18:19], v[86:87]
	v_mul_f64_e32 v[86:87], s[44:45], v[144:145]
	v_add_f64_e32 v[56:57], v[94:95], v[56:57]
	v_add_f64_e32 v[42:43], v[84:85], v[42:43]
	v_add_f64_e32 v[36:37], v[36:37], v[18:19]
	v_fma_f64 v[18:19], v[98:99], s[42:43], v[90:91]
	v_add_f64_e32 v[88:89], v[88:89], v[14:15]
	v_fma_f64 v[14:15], v[98:99], s[56:57], v[90:91]
	v_mul_f64_e32 v[90:91], s[20:21], v[144:145]
	s_delay_alu instid0(VALU_DEP_4)
	v_add_f64_e32 v[18:19], v[18:19], v[16:17]
	v_add_f64_e32 v[16:17], v[38:39], v[36:37]
	v_mul_f64_e32 v[36:37], s[18:19], v[150:151]
	v_mul_f64_e32 v[38:39], s[18:19], v[140:141]
	v_add_f64_e32 v[14:15], v[14:15], v[12:13]
	v_fma_f64 v[12:13], v[96:97], s[40:41], v[92:93]
	v_mul_f64_e32 v[92:93], s[30:31], v[144:145]
	v_add_f64_e32 v[36:37], v[156:157], v[36:37]
	v_add_f64_e64 v[38:39], v[38:39], -v[152:153]
	v_mul_f64_e32 v[156:157], s[40:41], v[146:147]
	v_add_f64_e32 v[12:13], v[12:13], v[88:89]
	v_mul_f64_e32 v[88:89], s[36:37], v[144:145]
	v_fma_f64 v[144:145], v[140:141], s[22:23], v[86:87]
	v_fma_f64 v[86:87], v[140:141], s[22:23], -v[86:87]
	v_fma_f64 v[152:153], v[140:141], s[34:35], -v[92:93]
	v_fma_f64 v[92:93], v[140:141], s[34:35], v[92:93]
	v_add_f64_e32 v[20:21], v[36:37], v[20:21]
	v_add_f64_e32 v[22:23], v[38:39], v[22:23]
	v_mul_f64_e32 v[36:37], s[26:27], v[112:113]
	v_mul_f64_e32 v[38:39], s[22:23], v[110:111]
	v_fma_f64 v[164:165], v[142:143], s[56:57], v[156:157]
	v_fma_f64 v[156:157], v[142:143], s[42:43], v[156:157]
	v_add_f64_e32 v[44:45], v[86:87], v[44:45]
	v_add_f64_e32 v[58:59], v[144:145], v[58:59]
	v_mul_f64_e32 v[86:87], s[34:35], v[118:119]
	v_add_f64_e32 v[20:21], v[40:41], v[20:21]
	v_add_f64_e32 v[22:23], v[52:53], v[22:23]
	v_add_f64_e64 v[36:37], v[36:37], -v[166:167]
	v_mul_f64_e32 v[40:41], s[22:23], v[102:103]
	v_add_f64_e32 v[38:39], v[176:177], v[38:39]
	v_mul_f64_e32 v[52:53], s[38:39], v[104:105]
	v_fma_f64 v[166:167], v[142:143], s[54:55], v[158:159]
	v_fma_f64 v[158:159], v[142:143], s[36:37], v[158:159]
	v_add_f64_e32 v[20:21], v[54:55], v[20:21]
	v_add_f64_e32 v[22:23], v[66:67], v[22:23]
	v_mul_f64_e32 v[54:55], s[34:35], v[150:151]
	v_add_f64_e64 v[40:41], v[40:41], -v[168:169]
	v_add_f64_e32 v[52:53], v[178:179], v[52:53]
	v_fma_f64 v[178:179], v[134:135], s[18:19], v[170:171]
	v_fma_f64 v[170:171], v[134:135], s[18:19], -v[170:171]
	v_add_f64_e32 v[20:21], v[68:69], v[20:21]
	v_add_f64_e32 v[22:23], v[78:79], v[22:23]
	v_fma_f64 v[82:83], v[148:149], s[30:31], v[54:55]
	v_fma_f64 v[54:55], v[148:149], s[58:59], v[54:55]
	v_add_f64_e32 v[58:59], v[178:179], v[58:59]
	v_add_f64_e32 v[44:45], v[170:171], v[44:45]
	;; [unrolled: 1-line block ×4, first 2 shown]
	v_mul_f64_e32 v[36:37], s[38:39], v[96:97]
	v_add_f64_e32 v[34:35], v[54:55], v[34:35]
	v_add_f64_e32 v[54:55], v[92:93], v[64:65]
	v_mul_f64_e32 v[92:93], s[40:41], v[118:119]
	v_add_f64_e32 v[32:33], v[82:83], v[32:33]
	v_add_f64_e32 v[44:45], v[202:203], v[44:45]
	;; [unrolled: 1-line block ×5, first 2 shown]
	v_add_f64_e64 v[36:37], v[36:37], -v[172:173]
	v_mul_f64_e32 v[40:41], s[38:39], v[150:151]
	v_mul_f64_e32 v[172:173], s[56:57], v[136:137]
	v_add_f64_e32 v[22:23], v[52:53], v[20:21]
	v_mul_f64_e32 v[52:53], s[26:27], v[150:151]
	v_add_f64_e32 v[20:21], v[36:37], v[38:39]
	v_mul_f64_e32 v[36:37], s[40:41], v[150:151]
	v_mul_f64_e32 v[38:39], s[22:23], v[150:151]
	v_fma_f64 v[78:79], v[148:149], s[54:55], v[40:41]
	v_fma_f64 v[40:41], v[148:149], s[36:37], v[40:41]
	;; [unrolled: 1-line block ×3, first 2 shown]
	v_fma_f64 v[90:91], v[140:141], s[26:27], -v[90:91]
	v_fma_f64 v[180:181], v[134:135], s[40:41], -v[172:173]
	v_fma_f64 v[172:173], v[134:135], s[40:41], v[172:173]
	v_fma_f64 v[80:81], v[148:149], s[52:53], v[52:53]
	;; [unrolled: 1-line block ×8, first 2 shown]
	v_fma_f64 v[88:89], v[140:141], s[38:39], -v[88:89]
	v_mul_f64_e32 v[140:141], s[8:9], v[146:147]
	v_mul_f64_e32 v[146:147], s[26:27], v[146:147]
	v_add_f64_e32 v[24:25], v[40:41], v[24:25]
	v_add_f64_e32 v[48:49], v[90:91], v[48:49]
	;; [unrolled: 1-line block ×3, first 2 shown]
	v_mul_f64_e32 v[90:91], s[8:9], v[118:119]
	v_add_f64_e32 v[26:27], v[78:79], v[26:27]
	v_add_f64_e32 v[30:31], v[80:81], v[30:31]
	;; [unrolled: 1-line block ×9, first 2 shown]
	v_fma_f64 v[160:161], v[142:143], s[46:47], v[140:141]
	v_fma_f64 v[140:141], v[142:143], s[2:3], v[140:141]
	;; [unrolled: 1-line block ×4, first 2 shown]
	v_mul_f64_e32 v[146:147], s[2:3], v[136:137]
	v_mul_f64_e32 v[136:137], s[20:21], v[136:137]
	v_add_f64_e32 v[46:47], v[152:153], v[50:51]
	v_mul_f64_e32 v[50:51], s[58:59], v[122:123]
	v_mul_f64_e32 v[52:53], s[36:37], v[122:123]
	;; [unrolled: 1-line block ×6, first 2 shown]
	v_fma_f64 v[122:123], v[116:117], s[2:3], v[90:91]
	v_fma_f64 v[90:91], v[116:117], s[46:47], v[90:91]
	v_add_f64_e32 v[62:63], v[174:175], v[62:63]
	v_add_f64_e32 v[24:25], v[164:165], v[24:25]
	;; [unrolled: 1-line block ×12, first 2 shown]
	v_mul_f64_e32 v[68:69], s[18:19], v[118:119]
	v_fma_f64 v[176:177], v[134:135], s[8:9], v[146:147]
	v_fma_f64 v[146:147], v[134:135], s[8:9], -v[146:147]
	v_fma_f64 v[184:185], v[134:135], s[26:27], -v[136:137]
	v_fma_f64 v[134:135], v[134:135], s[26:27], v[136:137]
	v_mul_f64_e32 v[136:137], s[22:23], v[138:139]
	v_mul_f64_e32 v[138:139], s[38:39], v[138:139]
	v_fma_f64 v[76:77], v[120:121], s[34:35], v[50:51]
	v_fma_f64 v[50:51], v[120:121], s[34:35], -v[50:51]
	v_fma_f64 v[78:79], v[120:121], s[38:39], v[52:53]
	v_fma_f64 v[52:53], v[120:121], s[38:39], -v[52:53]
	v_fma_f64 v[80:81], v[120:121], s[28:29], -v[70:71]
	v_fma_f64 v[70:71], v[120:121], s[28:29], v[70:71]
	v_fma_f64 v[82:83], v[120:121], s[18:19], -v[72:73]
	v_fma_f64 v[72:73], v[120:121], s[18:19], v[72:73]
	;; [unrolled: 2-line block ×3, first 2 shown]
	v_fma_f64 v[118:119], v[116:117], s[30:31], v[86:87]
	v_fma_f64 v[86:87], v[116:117], s[58:59], v[86:87]
	;; [unrolled: 1-line block ×4, first 2 shown]
	v_add_f64_e32 v[32:33], v[168:169], v[32:33]
	v_add_f64_e32 v[34:35], v[142:143], v[34:35]
	;; [unrolled: 1-line block ×12, first 2 shown]
	v_fma_f64 v[94:95], v[116:117], s[50:51], v[68:69]
	v_add_f64_e32 v[56:57], v[176:177], v[56:57]
	v_add_f64_e32 v[42:43], v[146:147], v[42:43]
	;; [unrolled: 1-line block ×3, first 2 shown]
	v_fma_f64 v[68:69], v[116:117], s[14:15], v[68:69]
	v_fma_f64 v[192:193], v[132:133], s[44:45], v[136:137]
	v_fma_f64 v[136:137], v[132:133], s[16:17], v[136:137]
	v_fma_f64 v[200:201], v[132:133], s[36:37], v[138:139]
	v_fma_f64 v[132:133], v[132:133], s[54:55], v[138:139]
	v_mul_f64_e32 v[138:139], s[16:17], v[128:129]
	v_mul_f64_e32 v[128:129], s[36:37], v[128:129]
	v_add_f64_e32 v[54:55], v[134:135], v[54:55]
	v_mul_f64_e32 v[134:135], s[58:59], v[114:115]
	v_add_f64_e32 v[44:45], v[52:53], v[44:45]
	v_add_f64_e32 v[58:59], v[78:79], v[58:59]
	v_mul_f64_e32 v[78:79], s[28:29], v[110:111]
	v_add_f64_e32 v[62:63], v[72:73], v[62:63]
	v_add_f64_e32 v[24:25], v[220:221], v[24:25]
	;; [unrolled: 1-line block ×8, first 2 shown]
	v_mul_f64_e32 v[60:61], s[38:39], v[110:111]
	v_add_f64_e32 v[40:41], v[80:81], v[40:41]
	v_mul_f64_e32 v[70:71], s[26:27], v[110:111]
	v_add_f64_e32 v[64:65], v[192:193], v[64:65]
	v_add_f64_e32 v[36:37], v[136:137], v[36:37]
	v_mul_f64_e32 v[136:137], s[16:17], v[114:115]
	v_add_f64_e32 v[32:33], v[200:201], v[32:33]
	v_fma_f64 v[208:209], v[126:127], s[22:23], v[138:139]
	v_fma_f64 v[138:139], v[126:127], s[22:23], -v[138:139]
	v_fma_f64 v[216:217], v[126:127], s[38:39], -v[128:129]
	v_fma_f64 v[126:127], v[126:127], s[38:39], v[128:129]
	v_mul_f64_e32 v[128:129], s[34:35], v[130:131]
	v_mul_f64_e32 v[130:131], s[22:23], v[130:131]
	v_fma_f64 v[142:143], v[112:113], s[34:35], v[134:135]
	v_fma_f64 v[134:135], v[112:113], s[34:35], -v[134:135]
	v_add_f64_e32 v[34:35], v[132:133], v[34:35]
	v_add_f64_e32 v[24:25], v[88:89], v[24:25]
	v_add_f64_e32 v[26:27], v[120:121], v[26:27]
	v_add_f64_e32 v[30:31], v[90:91], v[30:31]
	v_add_f64_e32 v[28:29], v[122:123], v[28:29]
	v_add_f64_e32 v[38:39], v[86:87], v[38:39]
	v_mul_f64_e32 v[86:87], s[48:49], v[106:107]
	v_fma_f64 v[80:81], v[108:109], s[54:55], v[60:61]
	v_fma_f64 v[60:61], v[108:109], s[36:37], v[60:61]
	v_fma_f64 v[144:145], v[112:113], s[22:23], -v[136:137]
	v_fma_f64 v[136:137], v[112:113], s[22:23], v[136:137]
	v_add_f64_e32 v[56:57], v[208:209], v[56:57]
	v_add_f64_e32 v[42:43], v[138:139], v[42:43]
	;; [unrolled: 1-line block ×3, first 2 shown]
	v_mul_f64_e32 v[138:139], s[2:3], v[114:115]
	v_fma_f64 v[224:225], v[124:125], s[30:31], v[128:129]
	v_fma_f64 v[128:129], v[124:125], s[58:59], v[128:129]
	;; [unrolled: 1-line block ×6, first 2 shown]
	v_mul_f64_e32 v[116:117], s[14:15], v[114:115]
	v_mul_f64_e32 v[114:115], s[56:57], v[114:115]
	v_add_f64_e32 v[54:55], v[126:127], v[54:55]
	v_add_f64_e32 v[58:59], v[142:143], v[58:59]
	;; [unrolled: 1-line block ×3, first 2 shown]
	v_fma_f64 v[90:91], v[102:103], s[28:29], -v[86:87]
	v_fma_f64 v[86:87], v[102:103], s[28:29], v[86:87]
	v_add_f64_e32 v[40:41], v[144:145], v[40:41]
	v_add_f64_e32 v[52:53], v[136:137], v[52:53]
	;; [unrolled: 1-line block ×8, first 2 shown]
	v_mul_f64_e32 v[66:67], s[8:9], v[110:111]
	v_fma_f64 v[146:147], v[112:113], s[8:9], -v[138:139]
	v_fma_f64 v[138:139], v[112:113], s[8:9], v[138:139]
	v_add_f64_e32 v[32:33], v[232:233], v[32:33]
	v_fma_f64 v[140:141], v[112:113], s[18:19], v[116:117]
	v_fma_f64 v[116:117], v[112:113], s[18:19], -v[116:117]
	v_fma_f64 v[148:149], v[112:113], s[40:41], -v[114:115]
	v_add_f64_e32 v[54:55], v[74:75], v[54:55]
	v_mul_f64_e32 v[74:75], s[2:3], v[106:107]
	v_add_f64_e32 v[34:35], v[124:125], v[34:35]
	v_mul_f64_e32 v[76:77], s[34:35], v[110:111]
	v_fma_f64 v[84:85], v[108:109], s[20:21], v[70:71]
	v_fma_f64 v[70:71], v[108:109], s[52:53], v[70:71]
	;; [unrolled: 1-line block ×5, first 2 shown]
	v_add_f64_e32 v[50:51], v[118:119], v[50:51]
	v_add_f64_e32 v[64:65], v[94:95], v[64:65]
	;; [unrolled: 1-line block ×3, first 2 shown]
	v_mul_f64_e32 v[68:69], s[36:37], v[106:107]
	v_fma_f64 v[82:83], v[108:109], s[46:47], v[66:67]
	v_fma_f64 v[66:67], v[108:109], s[2:3], v[66:67]
	v_add_f64_e32 v[32:33], v[130:131], v[32:33]
	v_add_f64_e32 v[56:57], v[140:141], v[56:57]
	v_add_f64_e32 v[42:43], v[116:117], v[42:43]
	v_add_f64_e32 v[46:47], v[148:149], v[46:47]
	v_add_f64_e32 v[48:49], v[146:147], v[48:49]
	v_add_f64_e32 v[62:63], v[138:139], v[62:63]
	v_add_f64_e32 v[34:35], v[92:93], v[34:35]
	v_mul_f64_e32 v[92:93], s[8:9], v[104:105]
	v_mul_f64_e32 v[94:95], s[20:21], v[100:101]
	v_fma_f64 v[110:111], v[108:109], s[30:31], v[76:77]
	v_add_f64_e32 v[24:25], v[70:71], v[24:25]
	v_mul_f64_e32 v[70:71], s[22:23], v[104:105]
	v_fma_f64 v[76:77], v[108:109], s[58:59], v[76:77]
	v_add_f64_e32 v[54:55], v[112:113], v[54:55]
	v_add_f64_e32 v[64:65], v[80:81], v[64:65]
	v_mul_f64_e32 v[80:81], s[52:53], v[106:107]
	v_fma_f64 v[72:73], v[102:103], s[38:39], v[68:69]
	v_fma_f64 v[68:69], v[102:103], s[38:39], -v[68:69]
	v_add_f64_e32 v[36:37], v[60:61], v[36:37]
	v_fma_f64 v[60:61], v[102:103], s[8:9], v[74:75]
	v_fma_f64 v[74:75], v[102:103], s[8:9], -v[74:75]
	v_add_f64_e32 v[50:51], v[82:83], v[50:51]
	v_mul_f64_e32 v[82:83], s[28:29], v[104:105]
	v_add_f64_e32 v[38:39], v[66:67], v[38:39]
	v_mul_f64_e32 v[66:67], s[26:27], v[104:105]
	;; [unrolled: 2-line block ×3, first 2 shown]
	v_add_f64_e32 v[32:33], v[114:115], v[32:33]
	v_add_f64_e32 v[28:29], v[110:111], v[28:29]
	;; [unrolled: 1-line block ×6, first 2 shown]
	v_mul_f64_e32 v[72:73], s[30:31], v[106:107]
	v_add_f64_e32 v[68:69], v[68:69], v[42:43]
	v_fma_f64 v[42:43], v[102:103], s[26:27], -v[80:81]
	v_fma_f64 v[80:81], v[102:103], s[26:27], v[80:81]
	v_add_f64_e32 v[58:59], v[60:61], v[58:59]
	v_mul_f64_e32 v[60:61], s[48:49], v[100:101]
	v_add_f64_e32 v[74:75], v[74:75], v[44:45]
	v_mul_f64_e32 v[44:45], s[18:19], v[104:105]
	v_fma_f64 v[110:111], v[96:97], s[22:23], -v[46:47]
	v_fma_f64 v[112:113], v[96:97], s[22:23], v[46:47]
	v_fma_f64 v[88:89], v[102:103], s[34:35], -v[72:73]
	v_fma_f64 v[72:73], v[102:103], s[34:35], v[72:73]
	v_mul_f64_e32 v[102:103], s[50:51], v[100:101]
	v_mul_f64_e32 v[100:101], s[46:47], v[100:101]
	v_add_f64_e32 v[104:105], v[42:43], v[40:41]
	v_fma_f64 v[40:41], v[98:99], s[48:49], v[82:83]
	v_fma_f64 v[42:43], v[98:99], s[20:21], v[66:67]
	v_add_f64_e32 v[52:53], v[80:81], v[52:53]
	v_fma_f64 v[80:81], v[98:99], s[16:17], v[70:71]
	v_fma_f64 v[70:71], v[98:99], s[44:45], v[70:71]
	v_fma_f64 v[106:107], v[96:97], s[28:29], v[60:61]
	v_fma_f64 v[60:61], v[96:97], s[28:29], -v[60:61]
	v_add_f64_e32 v[48:49], v[88:89], v[48:49]
	v_fma_f64 v[88:89], v[98:99], s[24:25], v[82:83]
	v_add_f64_e32 v[82:83], v[84:85], v[26:27]
	v_fma_f64 v[84:85], v[98:99], s[52:53], v[66:67]
	v_fma_f64 v[66:67], v[98:99], s[14:15], v[44:45]
	;; [unrolled: 1-line block ×3, first 2 shown]
	v_add_f64_e32 v[62:63], v[72:73], v[62:63]
	v_fma_f64 v[72:73], v[98:99], s[46:47], v[92:93]
	v_fma_f64 v[114:115], v[96:97], s[8:9], -v[100:101]
	v_fma_f64 v[108:109], v[96:97], s[18:19], -v[102:103]
	v_fma_f64 v[92:93], v[98:99], s[2:3], v[92:93]
	v_fma_f64 v[98:99], v[96:97], s[26:27], v[94:95]
	v_fma_f64 v[94:95], v[96:97], s[26:27], -v[94:95]
	v_fma_f64 v[102:103], v[96:97], s[18:19], v[102:103]
	v_fma_f64 v[96:97], v[96:97], s[8:9], v[100:101]
	v_add_f64_e32 v[34:35], v[42:43], v[38:39]
	v_add_f64_e32 v[30:31], v[40:41], v[36:37]
	;; [unrolled: 1-line block ×6, first 2 shown]
	v_mul_u32_u24_e32 v64, 17, v234
	v_add_f64_e32 v[50:51], v[84:85], v[50:51]
	v_add_f64_e32 v[54:55], v[66:67], v[82:83]
	;; [unrolled: 1-line block ×14, first 2 shown]
	v_lshlrev_b32_e32 v64, 4, v64
	ds_store_b128 v64, v[4:7]
	ds_store_b128 v64, v[20:23] offset:16
	ds_store_b128 v64, v[44:47] offset:32
	ds_store_b128 v64, v[40:43] offset:48
	ds_store_b128 v64, v[36:39] offset:64
	ds_store_b128 v64, v[32:35] offset:80
	ds_store_b128 v64, v[28:31] offset:96
	ds_store_b128 v64, v[16:19] offset:112
	ds_store_b128 v64, v[8:11] offset:128
	ds_store_b128 v64, v[0:3] offset:144
	ds_store_b128 v64, v[12:15] offset:160
	ds_store_b128 v64, v[24:27] offset:176
	ds_store_b128 v64, v[48:51] offset:192
	ds_store_b128 v64, v[52:55] offset:208
	ds_store_b128 v64, v[56:59] offset:224
	ds_store_b128 v64, v[60:63] offset:240
	scratch_load_b128 v[0:3], off, off offset:12 ; 16-byte Folded Reload
	s_wait_loadcnt 0x0
	ds_store_b128 v64, v[0:3] offset:256
.LBB0_7:
	s_wait_alu 0xfffe
	s_or_b32 exec_lo, exec_lo, s33
	scratch_load_b32 v246, off, off         ; 4-byte Folded Reload
	v_and_b32_e32 v0, 0xff, v234
	global_wb scope:SCOPE_SE
	s_wait_loadcnt_dscnt 0x0
	s_barrier_signal -1
	s_barrier_wait -1
	global_inv scope:SCOPE_SE
	v_mul_lo_u16 v0, 0xf1, v0
	s_mov_b32 s2, 0xe8584caa
	s_mov_b32 s3, 0x3febb67a
	;; [unrolled: 1-line block ×3, first 2 shown]
	s_wait_alu 0xfffe
	s_mov_b32 s8, s2
	v_lshrrev_b16 v93, 12, v0
	s_mov_b32 s26, 0xf8bb580b
	s_mov_b32 s34, 0x8eee2c13
	;; [unrolled: 1-line block ×4, first 2 shown]
	v_mul_lo_u16 v0, v93, 17
	s_mov_b32 s30, 0xfd768dbf
	s_mov_b32 s27, 0xbfe14ced
	;; [unrolled: 1-line block ×4, first 2 shown]
	v_sub_nc_u16 v0, v234, v0
	s_mov_b32 s29, 0xbfe82f19
	s_mov_b32 s31, 0xbfd207e7
	;; [unrolled: 1-line block ×4, first 2 shown]
	v_and_b32_e32 v94, 0xff, v0
	s_mov_b32 s14, 0x8764f0ba
	s_mov_b32 s16, 0xd9c712b6
	;; [unrolled: 1-line block ×9, first 2 shown]
	s_wait_alu 0xfffe
	s_mov_b32 s42, s30
	s_mov_b32 s41, 0x3fefac9e
	;; [unrolled: 1-line block ×7, first 2 shown]
	v_and_b32_e32 v1, 0xff, v246
	v_add_co_u32 v240, null, 0x66, v246
	v_add_co_u32 v3, null, 0x99, v246
	s_delay_alu instid0(VALU_DEP_3) | instskip(NEXT) | instid1(VALU_DEP_3)
	v_mul_lo_u16 v1, 0xf1, v1
	v_and_b32_e32 v163, 0xff, v240
	v_add_co_u32 v251, null, 0x132, v246
	v_add_co_u32 v235, null, 0x165, v246
	s_delay_alu instid0(VALU_DEP_4) | instskip(NEXT) | instid1(VALU_DEP_4)
	v_lshrrev_b16 v95, 12, v1
	v_mul_lo_u16 v2, 0xf1, v163
	v_add_co_u32 v243, null, 0x198, v246
	v_add_co_u32 v249, null, 0x1cb, v246
	s_delay_alu instid0(VALU_DEP_4) | instskip(NEXT) | instid1(VALU_DEP_4)
	v_mul_lo_u16 v1, v95, 17
	v_lshrrev_b16 v96, 12, v2
	v_and_b32_e32 v2, 0xff, v3
	v_add_co_u32 v250, null, 0x1fe, v246
	s_delay_alu instid0(VALU_DEP_4) | instskip(SKIP_1) | instid1(VALU_DEP_4)
	v_sub_nc_u16 v97, v246, v1
	v_lshlrev_b32_e32 v1, 5, v94
	v_mul_lo_u16 v2, 0xf1, v2
	s_delay_alu instid0(VALU_DEP_3)
	v_lshlrev_b16 v0, 1, v97
	s_clause 0x1
	global_load_b128 v[54:57], v1, s[0:1]
	global_load_b128 v[50:53], v1, s[0:1] offset:16
	v_mul_lo_u16 v1, v96, 17
	v_lshrrev_b16 v98, 12, v2
	v_and_b32_e32 v0, 0xfe, v0
	v_add_co_u32 v2, null, 0xcc, v246
	s_delay_alu instid0(VALU_DEP_4)
	v_sub_nc_u16 v1, v240, v1
	scratch_store_b32 off, v3, off offset:1004 ; 4-byte Folded Spill
	v_lshlrev_b32_e32 v0, 4, v0
	scratch_store_b32 off, v2, off offset:1024 ; 4-byte Folded Spill
	v_and_b32_e32 v99, 0xff, v1
	v_mul_lo_u16 v1, v98, 17
	s_clause 0x1
	global_load_b128 v[58:61], v0, s[0:1]
	global_load_b128 v[66:69], v0, s[0:1] offset:16
	v_lshlrev_b32_e32 v0, 5, v99
	v_sub_nc_u16 v1, v3, v1
	s_clause 0x1
	global_load_b128 v[62:65], v0, s[0:1]
	global_load_b128 v[70:73], v0, s[0:1] offset:16
	v_and_b32_e32 v100, 0xff, v1
	v_and_b32_e32 v0, 0xff, v2
	s_delay_alu instid0(VALU_DEP_2) | instskip(NEXT) | instid1(VALU_DEP_2)
	v_lshlrev_b32_e32 v1, 5, v100
	v_mul_lo_u16 v0, 0xf1, v0
	s_clause 0x1
	global_load_b128 v[78:81], v1, s[0:1]
	global_load_b128 v[74:77], v1, s[0:1] offset:16
	v_lshrrev_b16 v101, 12, v0
	s_delay_alu instid0(VALU_DEP_1) | instskip(NEXT) | instid1(VALU_DEP_1)
	v_mul_lo_u16 v0, v101, 17
	v_sub_nc_u16 v0, v2, v0
	s_delay_alu instid0(VALU_DEP_1) | instskip(NEXT) | instid1(VALU_DEP_1)
	v_and_b32_e32 v102, 0xff, v0
	v_lshlrev_b32_e32 v0, 5, v102
	s_clause 0x1
	global_load_b128 v[104:107], v0, s[0:1]
	global_load_b128 v[82:85], v0, s[0:1] offset:16
	ds_load_b128 v[0:3], v254 offset:9792
	ds_load_b128 v[4:7], v254 offset:18768
	ds_load_b128 v[8:11], v254 offset:8976
	ds_load_b128 v[12:15], v254 offset:17952
	ds_load_b128 v[16:19], v254 offset:10608
	ds_load_b128 v[28:31], v254 offset:11424
	ds_load_b128 v[20:23], v254 offset:19584
	ds_load_b128 v[135:138], v254 offset:2448
	s_wait_loadcnt_dscnt 0x907
	v_mul_f64_e32 v[24:25], v[2:3], v[56:57]
	v_mul_f64_e32 v[26:27], v[0:1], v[56:57]
	s_wait_loadcnt_dscnt 0x806
	v_mul_f64_e32 v[34:35], v[4:5], v[52:53]
	v_mul_f64_e32 v[32:33], v[6:7], v[52:53]
	s_clause 0x1
	scratch_store_b128 off, v[54:57], off offset:44
	scratch_store_b128 off, v[50:53], off offset:28
	s_wait_loadcnt_dscnt 0x705
	v_mul_f64_e32 v[36:37], v[10:11], v[60:61]
	s_wait_loadcnt_dscnt 0x604
	v_mul_f64_e32 v[40:41], v[14:15], v[68:69]
	v_mul_f64_e32 v[42:43], v[12:13], v[68:69]
	;; [unrolled: 1-line block ×3, first 2 shown]
	s_clause 0x1
	scratch_store_b128 off, v[58:61], off offset:60
	scratch_store_b128 off, v[66:69], off offset:92
	s_wait_loadcnt_dscnt 0x503
	v_mul_f64_e32 v[46:47], v[18:19], v[64:65]
	s_wait_loadcnt 0x4
	scratch_store_b128 off, v[70:73], off offset:108 ; 16-byte Folded Spill
	v_mul_f64_e32 v[48:49], v[16:17], v[64:65]
	scratch_store_b128 off, v[62:65], off offset:76 ; 16-byte Folded Spill
	s_wait_loadcnt 0x3
	scratch_store_b128 off, v[78:81], off offset:420 ; 16-byte Folded Spill
	s_wait_loadcnt 0x2
	scratch_store_b128 off, v[74:77], off offset:404 ; 16-byte Folded Spill
	v_fma_f64 v[90:91], v[0:1], v[54:55], -v[24:25]
	v_fma_f64 v[88:89], v[2:3], v[54:55], v[26:27]
	ds_load_b128 v[0:3], v254 offset:20400
	s_wait_dscnt 0x2
	v_mul_f64_e32 v[24:25], v[22:23], v[72:73]
	v_fma_f64 v[117:118], v[6:7], v[50:51], v[34:35]
	v_mul_f64_e32 v[34:35], v[30:31], v[80:81]
	v_fma_f64 v[115:116], v[4:5], v[50:51], -v[32:33]
	v_mul_f64_e32 v[32:33], v[20:21], v[72:73]
	ds_load_b128 v[4:7], v254 offset:12240
	v_fma_f64 v[44:45], v[8:9], v[58:59], -v[36:37]
	v_mul_f64_e32 v[8:9], v[28:29], v[80:81]
	v_fma_f64 v[52:53], v[12:13], v[66:67], -v[40:41]
	v_fma_f64 v[54:55], v[14:15], v[66:67], v[42:43]
	v_fma_f64 v[50:51], v[10:11], v[58:59], v[38:39]
	s_wait_dscnt 0x1
	v_mul_f64_e32 v[12:13], v[2:3], v[76:77]
	v_mul_f64_e32 v[14:15], v[0:1], v[76:77]
	v_fma_f64 v[26:27], v[16:17], v[62:63], -v[46:47]
	v_fma_f64 v[36:37], v[18:19], v[62:63], v[48:49]
	s_wait_loadcnt 0x1
	scratch_store_b128 off, v[104:107], off offset:452 ; 16-byte Folded Spill
	s_wait_loadcnt 0x0
	scratch_store_b128 off, v[82:85], off offset:436 ; 16-byte Folded Spill
	v_fma_f64 v[40:41], v[20:21], v[70:71], -v[24:25]
	v_add_f64_e32 v[86:87], v[88:89], v[117:118]
	v_fma_f64 v[20:21], v[28:29], v[78:79], -v[34:35]
	v_fma_f64 v[48:49], v[22:23], v[70:71], v[32:33]
	v_add_co_u32 v23, null, 0xff, v246
	s_delay_alu instid0(VALU_DEP_1)
	v_and_b32_e32 v22, 0xffff, v23
	v_mov_b32_e32 v24, v23
	v_fma_f64 v[28:29], v[30:31], v[78:79], v[8:9]
	ds_load_b128 v[8:11], v254 offset:21216
	v_add_f64_e32 v[119:120], v[44:45], v[52:53]
	v_add_f64_e32 v[121:122], v[50:51], v[54:55]
	v_add_f64_e64 v[123:124], v[50:51], -v[54:55]
	v_fma_f64 v[34:35], v[0:1], v[74:75], -v[12:13]
	v_fma_f64 v[42:43], v[2:3], v[74:75], v[14:15]
	v_mul_u32_u24_e32 v12, 0xf0f1, v22
	s_delay_alu instid0(VALU_DEP_1) | instskip(SKIP_3) | instid1(VALU_DEP_2)
	v_lshrrev_b32_e32 v103, 20, v12
	s_wait_dscnt 0x0
	v_mul_f64_e32 v[0:1], v[10:11], v[84:85]
	v_mul_f64_e32 v[2:3], v[8:9], v[84:85]
	v_fma_f64 v[38:39], v[8:9], v[82:83], -v[0:1]
	s_delay_alu instid0(VALU_DEP_2) | instskip(SKIP_3) | instid1(VALU_DEP_2)
	v_fma_f64 v[46:47], v[10:11], v[82:83], v[2:3]
	ds_load_b128 v[0:3], v254 offset:13056
	v_mul_f64_e32 v[16:17], v[6:7], v[106:107]
	v_mul_f64_e32 v[18:19], v[4:5], v[106:107]
	v_fma_f64 v[22:23], v[4:5], v[104:105], -v[16:17]
	v_mul_lo_u16 v4, v103, 17
	s_delay_alu instid0(VALU_DEP_3) | instskip(NEXT) | instid1(VALU_DEP_2)
	v_fma_f64 v[30:31], v[6:7], v[104:105], v[18:19]
	v_sub_nc_u16 v104, v24, v4
	s_delay_alu instid0(VALU_DEP_1) | instskip(NEXT) | instid1(VALU_DEP_1)
	v_lshlrev_b16 v4, 1, v104
	v_and_b32_e32 v4, 0xffff, v4
	s_delay_alu instid0(VALU_DEP_1)
	v_lshlrev_b32_e32 v12, 4, v4
	s_clause 0x1
	global_load_b128 v[6:9], v12, s[0:1]
	global_load_b128 v[10:13], v12, s[0:1] offset:16
	s_wait_loadcnt_dscnt 0x100
	v_mul_f64_e32 v[4:5], v[2:3], v[8:9]
	scratch_store_b128 off, v[6:9], off offset:468 ; 16-byte Folded Spill
	s_wait_loadcnt 0x0
	scratch_store_b128 off, v[10:13], off offset:484 ; 16-byte Folded Spill
	v_fma_f64 v[4:5], v[0:1], v[6:7], -v[4:5]
	v_mul_f64_e32 v[0:1], v[0:1], v[8:9]
	s_delay_alu instid0(VALU_DEP_1) | instskip(SKIP_3) | instid1(VALU_DEP_1)
	v_fma_f64 v[6:7], v[2:3], v[6:7], v[0:1]
	ds_load_b128 v[0:3], v254 offset:22032
	s_wait_dscnt 0x0
	v_mul_f64_e32 v[8:9], v[2:3], v[12:13]
	v_fma_f64 v[8:9], v[0:1], v[10:11], -v[8:9]
	v_mul_f64_e32 v[0:1], v[0:1], v[12:13]
	s_delay_alu instid0(VALU_DEP_1) | instskip(SKIP_1) | instid1(VALU_DEP_1)
	v_fma_f64 v[10:11], v[2:3], v[10:11], v[0:1]
	v_and_b32_e32 v0, 0xffff, v251
	v_mul_u32_u24_e32 v0, 0xf0f1, v0
	s_delay_alu instid0(VALU_DEP_1) | instskip(NEXT) | instid1(VALU_DEP_1)
	v_lshrrev_b32_e32 v105, 20, v0
	v_mul_lo_u16 v0, v105, 17
	s_delay_alu instid0(VALU_DEP_1) | instskip(NEXT) | instid1(VALU_DEP_1)
	v_sub_nc_u16 v106, v251, v0
	v_lshlrev_b16 v0, 1, v106
	s_delay_alu instid0(VALU_DEP_1) | instskip(NEXT) | instid1(VALU_DEP_1)
	v_and_b32_e32 v0, 0xffff, v0
	v_lshlrev_b32_e32 v16, 4, v0
	ds_load_b128 v[0:3], v254 offset:13872
	global_load_b128 v[56:59], v16, s[0:1]
	scratch_store_b32 off, v24, off offset:1040 ; 4-byte Folded Spill
	s_wait_loadcnt 0x0
	scratch_store_b128 off, v[56:59], off offset:500 ; 16-byte Folded Spill
	s_wait_dscnt 0x0
	v_mul_f64_e32 v[12:13], v[2:3], v[58:59]
	s_delay_alu instid0(VALU_DEP_1) | instskip(SKIP_1) | instid1(VALU_DEP_1)
	v_fma_f64 v[12:13], v[0:1], v[56:57], -v[12:13]
	v_mul_f64_e32 v[0:1], v[0:1], v[58:59]
	v_fma_f64 v[14:15], v[2:3], v[56:57], v[0:1]
	global_load_b128 v[56:59], v16, s[0:1] offset:16
	ds_load_b128 v[0:3], v254 offset:22848
	s_wait_loadcnt_dscnt 0x0
	v_mul_f64_e32 v[16:17], v[2:3], v[58:59]
	scratch_store_b128 off, v[56:59], off offset:516 ; 16-byte Folded Spill
	v_fma_f64 v[16:17], v[0:1], v[56:57], -v[16:17]
	v_mul_f64_e32 v[0:1], v[0:1], v[58:59]
	s_delay_alu instid0(VALU_DEP_1) | instskip(SKIP_1) | instid1(VALU_DEP_1)
	v_fma_f64 v[24:25], v[2:3], v[56:57], v[0:1]
	v_and_b32_e32 v0, 0xffff, v235
	v_mul_u32_u24_e32 v0, 0xf0f1, v0
	s_delay_alu instid0(VALU_DEP_1) | instskip(NEXT) | instid1(VALU_DEP_1)
	v_lshrrev_b32_e32 v107, 20, v0
	v_mul_lo_u16 v0, v107, 17
	s_delay_alu instid0(VALU_DEP_1) | instskip(NEXT) | instid1(VALU_DEP_1)
	v_sub_nc_u16 v108, v235, v0
	v_lshlrev_b16 v0, 1, v108
	s_delay_alu instid0(VALU_DEP_1) | instskip(NEXT) | instid1(VALU_DEP_1)
	v_and_b32_e32 v0, 0xffff, v0
	v_lshlrev_b32_e32 v56, 4, v0
	ds_load_b128 v[0:3], v254 offset:14688
	global_load_b128 v[57:60], v56, s[0:1]
	s_wait_loadcnt_dscnt 0x0
	v_mul_f64_e32 v[18:19], v[2:3], v[59:60]
	scratch_store_b128 off, v[57:60], off offset:532 ; 16-byte Folded Spill
	v_fma_f64 v[18:19], v[0:1], v[57:58], -v[18:19]
	v_mul_f64_e32 v[0:1], v[0:1], v[59:60]
	s_delay_alu instid0(VALU_DEP_1)
	v_fma_f64 v[32:33], v[2:3], v[57:58], v[0:1]
	global_load_b128 v[58:61], v56, s[0:1] offset:16
	ds_load_b128 v[0:3], v254 offset:23664
	s_wait_loadcnt_dscnt 0x0
	v_mul_f64_e32 v[56:57], v[2:3], v[60:61]
	scratch_store_b128 off, v[58:61], off offset:548 ; 16-byte Folded Spill
	v_fma_f64 v[56:57], v[0:1], v[58:59], -v[56:57]
	v_mul_f64_e32 v[0:1], v[0:1], v[60:61]
	s_delay_alu instid0(VALU_DEP_1) | instskip(SKIP_1) | instid1(VALU_DEP_1)
	v_fma_f64 v[60:61], v[2:3], v[58:59], v[0:1]
	v_and_b32_e32 v0, 0xffff, v243
	v_mul_u32_u24_e32 v0, 0xf0f1, v0
	s_delay_alu instid0(VALU_DEP_1) | instskip(NEXT) | instid1(VALU_DEP_1)
	v_lshrrev_b32_e32 v109, 20, v0
	v_mul_lo_u16 v0, v109, 17
	s_delay_alu instid0(VALU_DEP_1) | instskip(NEXT) | instid1(VALU_DEP_1)
	v_sub_nc_u16 v110, v243, v0
	v_lshlrev_b16 v0, 1, v110
	s_delay_alu instid0(VALU_DEP_1) | instskip(NEXT) | instid1(VALU_DEP_1)
	v_and_b32_e32 v0, 0xffff, v0
	v_lshlrev_b32_e32 v64, 4, v0
	ds_load_b128 v[0:3], v254 offset:15504
	global_load_b128 v[65:68], v64, s[0:1]
	s_wait_loadcnt_dscnt 0x0
	v_mul_f64_e32 v[58:59], v[2:3], v[67:68]
	scratch_store_b128 off, v[65:68], off offset:564 ; 16-byte Folded Spill
	v_fma_f64 v[58:59], v[0:1], v[65:66], -v[58:59]
	v_mul_f64_e32 v[0:1], v[0:1], v[67:68]
	s_delay_alu instid0(VALU_DEP_1)
	;; [unrolled: 29-line block ×4, first 2 shown]
	v_fma_f64 v[78:79], v[2:3], v[81:82], v[0:1]
	global_load_b128 v[82:85], v80, s[0:1] offset:16
	ds_load_b128 v[0:3], v254 offset:26112
	s_wait_loadcnt_dscnt 0x0
	v_mul_f64_e32 v[80:81], v[2:3], v[84:85]
	scratch_store_b128 off, v[82:85], off offset:644 ; 16-byte Folded Spill
	v_fma_f64 v[80:81], v[0:1], v[82:83], -v[80:81]
	v_mul_f64_e32 v[0:1], v[0:1], v[84:85]
	v_add_f64_e32 v[84:85], v[90:91], v[115:116]
	s_delay_alu instid0(VALU_DEP_2)
	v_fma_f64 v[82:83], v[2:3], v[82:83], v[0:1]
	ds_load_b128 v[0:3], v254 offset:816
	s_wait_dscnt 0x0
	v_fma_f64 v[84:85], v[84:85], -0.5, v[0:1]
	v_fma_f64 v[86:87], v[86:87], -0.5, v[2:3]
	v_add_f64_e32 v[2:3], v[2:3], v[88:89]
	v_add_f64_e32 v[0:1], v[0:1], v[90:91]
	v_add_f64_e64 v[88:89], v[88:89], -v[117:118]
	v_add_f64_e64 v[90:91], v[90:91], -v[115:116]
	s_delay_alu instid0(VALU_DEP_4) | instskip(NEXT) | instid1(VALU_DEP_4)
	v_add_f64_e32 v[2:3], v[2:3], v[117:118]
	v_add_f64_e32 v[0:1], v[0:1], v[115:116]
	s_delay_alu instid0(VALU_DEP_4)
	v_fma_f64 v[115:116], v[88:89], s[2:3], v[84:85]
	v_fma_f64 v[84:85], v[88:89], s[8:9], v[84:85]
	;; [unrolled: 1-line block ×4, first 2 shown]
	ds_load_b128 v[88:91], v254
	s_wait_dscnt 0x0
	v_fma_f64 v[119:120], v[119:120], -0.5, v[88:89]
	v_fma_f64 v[121:122], v[121:122], -0.5, v[90:91]
	v_add_f64_e32 v[90:91], v[90:91], v[50:51]
	v_add_f64_e32 v[88:89], v[88:89], v[44:45]
	v_add_f64_e64 v[44:45], v[44:45], -v[52:53]
	v_fma_f64 v[50:51], v[123:124], s[2:3], v[119:120]
	v_fma_f64 v[119:120], v[123:124], s[8:9], v[119:120]
	v_add_f64_e32 v[90:91], v[90:91], v[54:55]
	v_add_f64_e32 v[88:89], v[88:89], v[52:53]
	v_fma_f64 v[52:53], v[44:45], s[8:9], v[121:122]
	v_fma_f64 v[121:122], v[44:45], s[2:3], v[121:122]
	v_add_f64_e32 v[44:45], v[26:27], v[40:41]
	v_add_f64_e32 v[54:55], v[36:37], v[48:49]
	ds_load_b128 v[123:126], v254 offset:1632
	s_wait_dscnt 0x0
	v_fma_f64 v[44:45], v[44:45], -0.5, v[123:124]
	v_fma_f64 v[54:55], v[54:55], -0.5, v[125:126]
	v_add_f64_e32 v[123:124], v[123:124], v[26:27]
	v_add_f64_e64 v[26:27], v[26:27], -v[40:41]
	v_add_f64_e32 v[125:126], v[125:126], v[36:37]
	v_add_f64_e64 v[36:37], v[36:37], -v[48:49]
	s_delay_alu instid0(VALU_DEP_4) | instskip(NEXT) | instid1(VALU_DEP_4)
	v_add_f64_e32 v[123:124], v[123:124], v[40:41]
	v_fma_f64 v[129:130], v[26:27], s[8:9], v[54:55]
	v_fma_f64 v[133:134], v[26:27], s[2:3], v[54:55]
	v_add_f64_e32 v[26:27], v[20:21], v[34:35]
	v_fma_f64 v[127:128], v[36:37], s[2:3], v[44:45]
	v_fma_f64 v[131:132], v[36:37], s[8:9], v[44:45]
	v_add_f64_e32 v[125:126], v[125:126], v[48:49]
	v_add_f64_e32 v[40:41], v[135:136], v[20:21]
	v_add_f64_e64 v[48:49], v[28:29], -v[42:43]
	v_add_f64_e64 v[20:21], v[20:21], -v[34:35]
	v_fma_f64 v[36:37], v[26:27], -0.5, v[135:136]
	v_add_f64_e32 v[26:27], v[28:29], v[42:43]
	s_delay_alu instid0(VALU_DEP_1)
	v_fma_f64 v[44:45], v[26:27], -0.5, v[137:138]
	v_add_f64_e32 v[26:27], v[137:138], v[28:29]
	ds_load_b128 v[135:138], v254 offset:3264
	ds_load_b128 v[139:142], v254 offset:8160
	;; [unrolled: 1-line block ×7, first 2 shown]
	global_wb scope:SCOPE_SE
	s_wait_storecnt_dscnt 0x0
	s_barrier_signal -1
	s_barrier_wait -1
	global_inv scope:SCOPE_SE
	v_add_f64_e32 v[28:29], v[26:27], v[42:43]
	v_add_f64_e32 v[26:27], v[40:41], v[34:35]
	v_fma_f64 v[34:35], v[48:49], s[2:3], v[36:37]
	v_fma_f64 v[40:41], v[48:49], s[8:9], v[36:37]
	;; [unrolled: 1-line block ×4, first 2 shown]
	v_add_f64_e32 v[20:21], v[22:23], v[38:39]
	v_add_f64_e32 v[44:45], v[135:136], v[22:23]
	s_delay_alu instid0(VALU_DEP_2) | instskip(SKIP_1) | instid1(VALU_DEP_3)
	v_fma_f64 v[48:49], v[20:21], -0.5, v[135:136]
	v_add_f64_e32 v[20:21], v[30:31], v[46:47]
	v_add_f64_e32 v[44:45], v[44:45], v[38:39]
	v_add_f64_e64 v[38:39], v[22:23], -v[38:39]
	s_delay_alu instid0(VALU_DEP_3) | instskip(SKIP_2) | instid1(VALU_DEP_3)
	v_fma_f64 v[54:55], v[20:21], -0.5, v[137:138]
	v_add_f64_e32 v[20:21], v[137:138], v[30:31]
	v_add_f64_e64 v[30:31], v[30:31], -v[46:47]
	v_fma_f64 v[22:23], v[38:39], s[8:9], v[54:55]
	s_delay_alu instid0(VALU_DEP_3) | instskip(NEXT) | instid1(VALU_DEP_3)
	v_add_f64_e32 v[46:47], v[20:21], v[46:47]
	v_fma_f64 v[20:21], v[30:31], s[2:3], v[48:49]
	v_fma_f64 v[135:136], v[30:31], s[8:9], v[48:49]
	v_mad_u16 v30, v95, 51, v97
	v_fma_f64 v[137:138], v[38:39], s[2:3], v[54:55]
	v_add_f64_e32 v[38:39], v[6:7], v[10:11]
	v_add_f64_e32 v[48:49], v[145:146], v[6:7]
	;; [unrolled: 1-line block ×3, first 2 shown]
	v_and_b32_e32 v30, 0xff, v30
	v_add_f64_e64 v[6:7], v[6:7], -v[10:11]
	s_delay_alu instid0(VALU_DEP_2)
	v_lshlrev_b32_e32 v92, 4, v30
	v_add_f64_e32 v[30:31], v[4:5], v[8:9]
	ds_store_b128 v92, v[88:91]
	ds_store_b128 v92, v[50:53] offset:272
	scratch_store_b32 off, v92, off offset:1352 ; 4-byte Folded Spill
	ds_store_b128 v92, v[119:122] offset:544
	v_fma_f64 v[38:39], v[38:39], -0.5, v[145:146]
	v_add_f64_e32 v[90:91], v[48:49], v[10:11]
	v_add_f64_e64 v[10:11], v[4:5], -v[8:9]
	v_add_f64_e32 v[88:89], v[54:55], v[8:9]
	v_add_f64_e32 v[54:55], v[147:148], v[12:13]
	;; [unrolled: 1-line block ×3, first 2 shown]
	v_fma_f64 v[30:31], v[30:31], -0.5, v[143:144]
	s_delay_alu instid0(VALU_DEP_3) | instskip(NEXT) | instid1(VALU_DEP_3)
	v_add_f64_e32 v[143:144], v[54:55], v[16:17]
	v_add_f64_e32 v[145:146], v[48:49], v[24:25]
	v_add_f64_e64 v[48:49], v[32:33], -v[60:61]
	s_delay_alu instid0(VALU_DEP_4)
	v_fma_f64 v[4:5], v[6:7], s[2:3], v[30:31]
	v_fma_f64 v[8:9], v[6:7], s[8:9], v[30:31]
	;; [unrolled: 1-line block ×4, first 2 shown]
	v_add_f64_e32 v[30:31], v[12:13], v[16:17]
	v_add_f64_e32 v[38:39], v[14:15], v[24:25]
	v_add_f64_e64 v[14:15], v[14:15], -v[24:25]
	v_add_f64_e64 v[16:17], v[12:13], -v[16:17]
	s_delay_alu instid0(VALU_DEP_4) | instskip(NEXT) | instid1(VALU_DEP_4)
	v_fma_f64 v[30:31], v[30:31], -0.5, v[147:148]
	v_fma_f64 v[38:39], v[38:39], -0.5, v[149:150]
	s_delay_alu instid0(VALU_DEP_2) | instskip(SKIP_1) | instid1(VALU_DEP_3)
	v_fma_f64 v[12:13], v[14:15], s[2:3], v[30:31]
	v_fma_f64 v[147:148], v[14:15], s[8:9], v[30:31]
	;; [unrolled: 1-line block ×4, first 2 shown]
	v_add_f64_e32 v[16:17], v[18:19], v[56:57]
	v_add_f64_e32 v[30:31], v[151:152], v[18:19]
	s_delay_alu instid0(VALU_DEP_2) | instskip(SKIP_1) | instid1(VALU_DEP_3)
	v_fma_f64 v[24:25], v[16:17], -0.5, v[151:152]
	v_add_f64_e32 v[16:17], v[32:33], v[60:61]
	v_add_f64_e32 v[30:31], v[30:31], v[56:57]
	v_add_f64_e64 v[56:57], v[18:19], -v[56:57]
	v_add_f64_e64 v[151:152], v[62:63], -v[66:67]
	v_fma_f64 v[54:55], v[48:49], s[8:9], v[24:25]
	v_fma_f64 v[38:39], v[16:17], -0.5, v[153:154]
	v_add_f64_e32 v[16:17], v[153:154], v[32:33]
	s_delay_alu instid0(VALU_DEP_2) | instskip(NEXT) | instid1(VALU_DEP_2)
	v_fma_f64 v[18:19], v[56:57], s[8:9], v[38:39]
	v_add_f64_e32 v[32:33], v[16:17], v[60:61]
	v_fma_f64 v[16:17], v[48:49], s[2:3], v[24:25]
	v_add_f64_e32 v[24:25], v[58:59], v[64:65]
	;; [unrolled: 2-line block ×3, first 2 shown]
	v_add_f64_e32 v[48:49], v[157:158], v[62:63]
	v_add_f64_e32 v[60:61], v[155:156], v[58:59]
	v_fma_f64 v[24:25], v[24:25], -0.5, v[155:156]
	s_delay_alu instid0(VALU_DEP_4) | instskip(NEXT) | instid1(VALU_DEP_4)
	v_fma_f64 v[38:39], v[38:39], -0.5, v[157:158]
	v_add_f64_e32 v[62:63], v[48:49], v[66:67]
	s_delay_alu instid0(VALU_DEP_4)
	v_add_f64_e32 v[60:61], v[60:61], v[64:65]
	v_add_f64_e64 v[48:49], v[58:59], -v[64:65]
	v_add_f64_e32 v[58:59], v[159:160], v[68:69]
	v_fma_f64 v[64:65], v[151:152], s[2:3], v[24:25]
	v_fma_f64 v[151:152], v[151:152], s[8:9], v[24:25]
	v_add_f64_e32 v[24:25], v[68:69], v[72:73]
	v_fma_f64 v[66:67], v[48:49], s[8:9], v[38:39]
	v_fma_f64 v[153:154], v[48:49], s[2:3], v[38:39]
	v_add_f64_e32 v[38:39], v[70:71], v[76:77]
	v_add_f64_e32 v[48:49], v[161:162], v[70:71]
	v_add_f64_e64 v[70:71], v[70:71], -v[76:77]
	v_add_f64_e32 v[155:156], v[58:59], v[72:73]
	v_add_f64_e32 v[58:59], v[139:140], v[74:75]
	v_fma_f64 v[24:25], v[24:25], -0.5, v[159:160]
	v_fma_f64 v[38:39], v[38:39], -0.5, v[161:162]
	v_add_f64_e32 v[157:158], v[48:49], v[76:77]
	v_add_f64_e64 v[48:49], v[68:69], -v[72:73]
	v_add_f64_e32 v[76:77], v[58:59], v[80:81]
	v_fma_f64 v[68:69], v[70:71], s[2:3], v[24:25]
	v_fma_f64 v[159:160], v[70:71], s[8:9], v[24:25]
	v_add_f64_e32 v[24:25], v[74:75], v[80:81]
	v_fma_f64 v[70:71], v[48:49], s[8:9], v[38:39]
	v_fma_f64 v[161:162], v[48:49], s[2:3], v[38:39]
	v_add_f64_e32 v[48:49], v[141:142], v[78:79]
	v_add_f64_e32 v[38:39], v[78:79], v[82:83]
	v_fma_f64 v[24:25], v[24:25], -0.5, v[139:140]
	v_add_f64_e64 v[139:140], v[78:79], -v[82:83]
	s_delay_alu instid0(VALU_DEP_4) | instskip(SKIP_2) | instid1(VALU_DEP_4)
	v_add_f64_e32 v[78:79], v[48:49], v[82:83]
	v_add_f64_e64 v[48:49], v[74:75], -v[80:81]
	v_fma_f64 v[38:39], v[38:39], -0.5, v[141:142]
	v_fma_f64 v[72:73], v[139:140], s[2:3], v[24:25]
	v_fma_f64 v[80:81], v[139:140], s[8:9], v[24:25]
	v_and_b32_e32 v24, 0xffff, v93
	s_delay_alu instid0(VALU_DEP_1) | instskip(SKIP_2) | instid1(VALU_DEP_3)
	v_mul_u32_u24_e32 v24, 51, v24
	v_fma_f64 v[82:83], v[48:49], s[2:3], v[38:39]
	v_fma_f64 v[74:75], v[48:49], s[8:9], v[38:39]
	v_add_lshl_u32 v24, v24, v94, 4
	ds_store_b128 v24, v[0:3]
	ds_store_b128 v24, v[115:118] offset:272
	v_and_b32_e32 v0, 0xffff, v96
	scratch_store_b32 off, v24, off offset:1372 ; 4-byte Folded Spill
	ds_store_b128 v24, v[84:87] offset:544
	v_mul_u32_u24_e32 v0, 51, v0
	s_delay_alu instid0(VALU_DEP_1)
	v_add_lshl_u32 v0, v0, v99, 4
	ds_store_b128 v0, v[123:126]
	ds_store_b128 v0, v[127:130] offset:272
	scratch_store_b32 off, v0, off offset:1368 ; 4-byte Folded Spill
	ds_store_b128 v0, v[131:134] offset:544
	v_and_b32_e32 v0, 0xffff, v98
	s_delay_alu instid0(VALU_DEP_1) | instskip(NEXT) | instid1(VALU_DEP_1)
	v_mul_u32_u24_e32 v0, 51, v0
	v_add_lshl_u32 v0, v0, v100, 4
	ds_store_b128 v0, v[26:29]
	ds_store_b128 v0, v[34:37] offset:272
	scratch_store_b32 off, v0, off offset:1364 ; 4-byte Folded Spill
	ds_store_b128 v0, v[40:43] offset:544
	v_and_b32_e32 v0, 0xffff, v101
	s_delay_alu instid0(VALU_DEP_1) | instskip(NEXT) | instid1(VALU_DEP_1)
	v_mul_u32_u24_e32 v0, 51, v0
	v_add_lshl_u32 v0, v0, v102, 4
	ds_store_b128 v0, v[44:47]
	ds_store_b128 v0, v[20:23] offset:272
	scratch_store_b32 off, v0, off offset:1360 ; 4-byte Folded Spill
	ds_store_b128 v0, v[135:138] offset:544
	v_mad_u16 v0, v103, 51, v104
	s_delay_alu instid0(VALU_DEP_1) | instskip(NEXT) | instid1(VALU_DEP_1)
	v_and_b32_e32 v0, 0xffff, v0
	v_lshlrev_b32_e32 v0, 4, v0
	ds_store_b128 v0, v[88:91]
	ds_store_b128 v0, v[4:7] offset:272
	scratch_store_b32 off, v0, off offset:1356 ; 4-byte Folded Spill
	ds_store_b128 v0, v[8:11] offset:544
	v_mad_u16 v0, v105, 51, v106
	v_mad_co_u64_u32 v[4:5], null, 0xa0, v246, s[0:1]
	s_delay_alu instid0(VALU_DEP_2) | instskip(NEXT) | instid1(VALU_DEP_1)
	v_and_b32_e32 v0, 0xffff, v0
	v_lshlrev_b32_e32 v0, 4, v0
	ds_store_b128 v0, v[143:146]
	ds_store_b128 v0, v[12:15] offset:272
	scratch_store_b32 off, v0, off offset:1284 ; 4-byte Folded Spill
	ds_store_b128 v0, v[147:150] offset:544
	v_mad_u16 v0, v107, 51, v108
	s_delay_alu instid0(VALU_DEP_1) | instskip(NEXT) | instid1(VALU_DEP_1)
	v_and_b32_e32 v0, 0xffff, v0
	v_lshlrev_b32_e32 v0, 4, v0
	ds_store_b128 v0, v[30:33]
	ds_store_b128 v0, v[16:19] offset:272
	scratch_store_b32 off, v0, off offset:1120 ; 4-byte Folded Spill
	ds_store_b128 v0, v[54:57] offset:544
	v_mad_u16 v0, v109, 51, v110
	s_delay_alu instid0(VALU_DEP_1) | instskip(NEXT) | instid1(VALU_DEP_1)
	;; [unrolled: 8-line block ×4, first 2 shown]
	v_and_b32_e32 v0, 0xffff, v0
	v_lshlrev_b32_e32 v0, 4, v0
	ds_store_b128 v0, v[76:79]
	ds_store_b128 v0, v[72:75] offset:272
	scratch_store_b32 off, v0, off offset:980 ; 4-byte Folded Spill
	ds_store_b128 v0, v[80:83] offset:544
	global_wb scope:SCOPE_SE
	s_wait_storecnt_dscnt 0x0
	s_barrier_signal -1
	s_barrier_wait -1
	global_inv scope:SCOPE_SE
	s_clause 0x3
	global_load_b128 v[12:15], v[4:5], off offset:544
	global_load_b128 v[44:47], v[4:5], off offset:560
	;; [unrolled: 1-line block ×4, first 2 shown]
	ds_load_b128 v[0:3], v254 offset:2448
	s_clause 0x5
	global_load_b128 v[48:51], v[4:5], off offset:608
	global_load_b128 v[40:43], v[4:5], off offset:624
	;; [unrolled: 1-line block ×6, first 2 shown]
	s_wait_loadcnt_dscnt 0x900
	v_mul_f64_e32 v[6:7], v[2:3], v[14:15]
	scratch_store_b128 off, v[12:15], off offset:660 ; 16-byte Folded Spill
	s_wait_loadcnt 0x7
	scratch_store_b128 off, v[36:39], off offset:756 ; 16-byte Folded Spill
	s_wait_loadcnt 0x6
	s_clause 0x1
	scratch_store_b128 off, v[28:31], off offset:724
	scratch_store_b128 off, v[44:47], off offset:788
	s_wait_loadcnt 0x5
	scratch_store_b128 off, v[48:51], off offset:804 ; 16-byte Folded Spill
	s_wait_loadcnt 0x4
	scratch_store_b128 off, v[40:43], off offset:772 ; 16-byte Folded Spill
	;; [unrolled: 2-line block ×6, first 2 shown]
	v_fma_f64 v[8:9], v[0:1], v[12:13], -v[6:7]
	v_mul_f64_e32 v[0:1], v[0:1], v[14:15]
	s_delay_alu instid0(VALU_DEP_1) | instskip(SKIP_3) | instid1(VALU_DEP_1)
	v_fma_f64 v[10:11], v[2:3], v[12:13], v[0:1]
	ds_load_b128 v[0:3], v254 offset:4896
	s_wait_dscnt 0x0
	v_mul_f64_e32 v[6:7], v[2:3], v[46:47]
	v_fma_f64 v[92:93], v[0:1], v[44:45], -v[6:7]
	v_mul_f64_e32 v[0:1], v[0:1], v[46:47]
	s_delay_alu instid0(VALU_DEP_1) | instskip(SKIP_3) | instid1(VALU_DEP_1)
	v_fma_f64 v[94:95], v[2:3], v[44:45], v[0:1]
	ds_load_b128 v[0:3], v254 offset:7344
	s_wait_dscnt 0x0
	v_mul_f64_e32 v[6:7], v[2:3], v[38:39]
	;; [unrolled: 7-line block ×5, first 2 shown]
	v_fma_f64 v[124:125], v[0:1], v[40:41], -v[6:7]
	v_mul_f64_e32 v[0:1], v[0:1], v[42:43]
	s_delay_alu instid0(VALU_DEP_2) | instskip(NEXT) | instid1(VALU_DEP_2)
	v_add_f64_e32 v[196:197], v[120:121], v[124:125]
	v_fma_f64 v[126:127], v[2:3], v[40:41], v[0:1]
	ds_load_b128 v[0:3], v254 offset:17136
	s_wait_dscnt 0x0
	v_mul_f64_e32 v[6:7], v[2:3], v[34:35]
	v_add_f64_e64 v[194:195], v[122:123], -v[126:127]
	s_delay_alu instid0(VALU_DEP_2) | instskip(SKIP_1) | instid1(VALU_DEP_3)
	v_fma_f64 v[128:129], v[0:1], v[32:33], -v[6:7]
	v_mul_f64_e32 v[0:1], v[0:1], v[34:35]
	v_mul_f64_e32 v[198:199], s[30:31], v[194:195]
	s_delay_alu instid0(VALU_DEP_3) | instskip(NEXT) | instid1(VALU_DEP_3)
	v_add_f64_e32 v[186:187], v[88:89], v[128:129]
	v_fma_f64 v[130:131], v[2:3], v[32:33], v[0:1]
	ds_load_b128 v[0:3], v254 offset:19584
	v_add_f64_e64 v[188:189], v[88:89], -v[128:129]
	s_wait_dscnt 0x0
	v_mul_f64_e32 v[6:7], v[2:3], v[26:27]
	v_add_f64_e64 v[184:185], v[90:91], -v[130:131]
	v_add_f64_e32 v[190:191], v[90:91], v[130:131]
	s_delay_alu instid0(VALU_DEP_4) | instskip(NEXT) | instid1(VALU_DEP_4)
	v_mul_f64_e32 v[192:193], s[28:29], v[188:189]
	v_fma_f64 v[80:81], v[0:1], v[24:25], -v[6:7]
	v_mul_f64_e32 v[0:1], v[0:1], v[26:27]
	s_delay_alu instid0(VALU_DEP_2) | instskip(NEXT) | instid1(VALU_DEP_2)
	v_add_f64_e64 v[180:181], v[84:85], -v[80:81]
	v_fma_f64 v[82:83], v[2:3], v[24:25], v[0:1]
	ds_load_b128 v[0:3], v254 offset:22032
	s_wait_dscnt 0x0
	v_mul_f64_e32 v[6:7], v[2:3], v[22:23]
	v_add_f64_e32 v[182:183], v[86:87], v[82:83]
	s_delay_alu instid0(VALU_DEP_2) | instskip(SKIP_1) | instid1(VALU_DEP_1)
	v_fma_f64 v[136:137], v[0:1], v[20:21], -v[6:7]
	v_mul_f64_e32 v[0:1], v[0:1], v[22:23]
	v_fma_f64 v[138:139], v[2:3], v[20:21], v[0:1]
	ds_load_b128 v[0:3], v254 offset:24480
	s_wait_dscnt 0x0
	v_mul_f64_e32 v[4:5], v[2:3], v[18:19]
	s_delay_alu instid0(VALU_DEP_1) | instskip(SKIP_1) | instid1(VALU_DEP_1)
	v_fma_f64 v[140:141], v[0:1], v[16:17], -v[4:5]
	v_mul_f64_e32 v[0:1], v[0:1], v[18:19]
	v_fma_f64 v[142:143], v[2:3], v[16:17], v[0:1]
	ds_load_b128 v[2:5], v254 offset:3264
	s_wait_dscnt 0x0
	v_mul_f64_e32 v[0:1], v[4:5], v[14:15]
	s_delay_alu instid0(VALU_DEP_1) | instskip(SKIP_1) | instid1(VALU_DEP_1)
	;; [unrolled: 7-line block ×3, first 2 shown]
	v_fma_f64 v[144:145], v[4:5], v[44:45], -v[12:13]
	v_mul_f64_e32 v[4:5], v[4:5], v[46:47]
	v_fma_f64 v[146:147], v[6:7], v[44:45], v[4:5]
	ds_load_b128 v[4:7], v254 offset:8160
	s_wait_dscnt 0x0
	v_mul_f64_e32 v[12:13], v[6:7], v[38:39]
	s_delay_alu instid0(VALU_DEP_1) | instskip(SKIP_2) | instid1(VALU_DEP_2)
	v_fma_f64 v[148:149], v[4:5], v[36:37], -v[12:13]
	v_mul_f64_e32 v[4:5], v[4:5], v[38:39]
	v_add_f64_e32 v[38:39], v[10:11], v[142:143]
	v_fma_f64 v[150:151], v[6:7], v[36:37], v[4:5]
	ds_load_b128 v[4:7], v254 offset:10608
	s_wait_dscnt 0x0
	v_mul_f64_e32 v[12:13], v[6:7], v[30:31]
	s_delay_alu instid0(VALU_DEP_1) | instskip(SKIP_1) | instid1(VALU_DEP_1)
	v_fma_f64 v[152:153], v[4:5], v[28:29], -v[12:13]
	v_mul_f64_e32 v[4:5], v[4:5], v[30:31]
	v_fma_f64 v[154:155], v[6:7], v[28:29], v[4:5]
	ds_load_b128 v[4:7], v254 offset:13056
	s_wait_dscnt 0x0
	v_mul_f64_e32 v[12:13], v[6:7], v[50:51]
	s_delay_alu instid0(VALU_DEP_1) | instskip(SKIP_1) | instid1(VALU_DEP_1)
	v_fma_f64 v[156:157], v[4:5], v[48:49], -v[12:13]
	v_mul_f64_e32 v[4:5], v[4:5], v[50:51]
	;; [unrolled: 7-line block ×7, first 2 shown]
	v_fma_f64 v[218:219], v[6:7], v[16:17], v[4:5]
	v_mul_lo_u16 v4, 0xa1, v163
	s_delay_alu instid0(VALU_DEP_1) | instskip(NEXT) | instid1(VALU_DEP_1)
	v_lshrrev_b16 v4, 13, v4
	v_mul_lo_u16 v4, v4, 51
	s_delay_alu instid0(VALU_DEP_1) | instskip(NEXT) | instid1(VALU_DEP_1)
	v_sub_nc_u16 v4, v240, v4
	v_and_b32_e32 v4, 0xff, v4
	s_delay_alu instid0(VALU_DEP_1)
	v_mad_co_u64_u32 v[12:13], null, 0xa0, v4, s[0:1]
	global_load_b128 v[16:19], v[12:13], off offset:544
	scratch_store_b32 off, v4, off offset:984 ; 4-byte Folded Spill
	ds_load_b128 v[4:7], v254 offset:4080
	v_add_f64_e32 v[74:75], v[2:3], v[218:219]
	s_wait_loadcnt 0x0
	scratch_store_b128 off, v[16:19], off offset:820 ; 16-byte Folded Spill
	s_wait_dscnt 0x0
	v_mul_f64_e32 v[14:15], v[6:7], v[18:19]
	s_delay_alu instid0(VALU_DEP_1) | instskip(SKIP_1) | instid1(VALU_DEP_1)
	v_fma_f64 v[220:221], v[4:5], v[16:17], -v[14:15]
	v_mul_f64_e32 v[4:5], v[4:5], v[18:19]
	v_fma_f64 v[224:225], v[6:7], v[16:17], v[4:5]
	global_load_b128 v[16:19], v[12:13], off offset:560
	ds_load_b128 v[4:7], v254 offset:6528
	s_wait_loadcnt_dscnt 0x0
	v_mul_f64_e32 v[14:15], v[6:7], v[18:19]
	scratch_store_b128 off, v[16:19], off offset:836 ; 16-byte Folded Spill
	v_fma_f64 v[112:113], v[4:5], v[16:17], -v[14:15]
	v_mul_f64_e32 v[4:5], v[4:5], v[18:19]
	s_delay_alu instid0(VALU_DEP_1)
	v_fma_f64 v[114:115], v[6:7], v[16:17], v[4:5]
	global_load_b128 v[16:19], v[12:13], off offset:576
	ds_load_b128 v[4:7], v254 offset:8976
	s_wait_loadcnt_dscnt 0x0
	v_mul_f64_e32 v[14:15], v[6:7], v[18:19]
	scratch_store_b128 off, v[16:19], off offset:852 ; 16-byte Folded Spill
	v_fma_f64 v[104:105], v[4:5], v[16:17], -v[14:15]
	v_mul_f64_e32 v[4:5], v[4:5], v[18:19]
	s_delay_alu instid0(VALU_DEP_1)
	;; [unrolled: 9-line block ×7, first 2 shown]
	v_fma_f64 v[118:119], v[6:7], v[16:17], v[4:5]
	global_load_b128 v[16:19], v[12:13], off offset:672
	ds_load_b128 v[4:7], v254 offset:23664
	s_wait_loadcnt_dscnt 0x0
	v_mul_f64_e32 v[14:15], v[6:7], v[18:19]
	scratch_store_b128 off, v[16:19], off offset:948 ; 16-byte Folded Spill
	v_fma_f64 v[222:223], v[4:5], v[16:17], -v[14:15]
	v_mul_f64_e32 v[4:5], v[4:5], v[18:19]
	v_add_f64_e32 v[18:19], v[8:9], v[140:141]
	s_delay_alu instid0(VALU_DEP_2)
	v_fma_f64 v[226:227], v[6:7], v[16:17], v[4:5]
	global_load_b128 v[14:17], v[12:13], off offset:688
	ds_load_b128 v[4:7], v254 offset:26112
	s_wait_loadcnt_dscnt 0x0
	v_mul_f64_e32 v[12:13], v[6:7], v[16:17]
	scratch_store_b128 off, v[14:17], off offset:964 ; 16-byte Folded Spill
	v_fma_f64 v[228:229], v[4:5], v[14:15], -v[12:13]
	v_mul_f64_e32 v[4:5], v[4:5], v[16:17]
	s_delay_alu instid0(VALU_DEP_1) | instskip(SKIP_1) | instid1(VALU_DEP_1)
	v_fma_f64 v[230:231], v[6:7], v[14:15], v[4:5]
	v_add_f64_e64 v[4:5], v[10:11], -v[142:143]
	v_mul_f64_e32 v[6:7], s[26:27], v[4:5]
	v_mul_f64_e32 v[12:13], s[34:35], v[4:5]
	;; [unrolled: 1-line block ×5, first 2 shown]
	v_fma_f64 v[20:21], v[18:19], s[14:15], -v[6:7]
	v_fma_f64 v[22:23], v[18:19], s[14:15], v[6:7]
	v_fma_f64 v[24:25], v[18:19], s[16:17], -v[12:13]
	v_fma_f64 v[12:13], v[18:19], s[16:17], v[12:13]
	;; [unrolled: 2-line block ×3, first 2 shown]
	v_add_f64_e64 v[4:5], v[8:9], -v[140:141]
	v_fma_f64 v[26:27], v[18:19], s[18:19], -v[14:15]
	v_fma_f64 v[14:15], v[18:19], s[18:19], v[14:15]
	v_fma_f64 v[28:29], v[18:19], s[20:21], -v[16:17]
	v_fma_f64 v[30:31], v[18:19], s[20:21], v[16:17]
	v_mul_f64_e32 v[6:7], s[26:27], v[4:5]
	v_mul_f64_e32 v[16:17], s[34:35], v[4:5]
	;; [unrolled: 1-line block ×5, first 2 shown]
	v_fma_f64 v[40:41], v[38:39], s[14:15], v[6:7]
	v_fma_f64 v[42:43], v[38:39], s[14:15], -v[6:7]
	v_fma_f64 v[44:45], v[38:39], s[16:17], v[16:17]
	v_fma_f64 v[16:17], v[38:39], s[16:17], -v[16:17]
	;; [unrolled: 2-line block ×5, first 2 shown]
	ds_load_b128 v[4:7], v254
	s_wait_dscnt 0x0
	v_add_f64_e32 v[8:9], v[4:5], v[8:9]
	v_add_f64_e32 v[22:23], v[4:5], v[22:23]
	v_add_f64_e32 v[54:55], v[4:5], v[12:13]
	v_add_f64_e32 v[62:63], v[4:5], v[26:27]
	v_add_f64_e32 v[18:19], v[4:5], v[14:15]
	v_add_f64_e32 v[26:27], v[4:5], v[28:29]
	v_add_f64_e32 v[30:31], v[4:5], v[30:31]
	v_add_f64_e32 v[36:37], v[4:5], v[36:37]
	v_add_f64_e32 v[132:133], v[6:7], v[42:43]
	v_add_f64_e32 v[42:43], v[4:5], v[24:25]
	v_add_f64_e32 v[44:45], v[6:7], v[44:45]
	v_add_f64_e32 v[60:61], v[6:7], v[16:17]
	v_add_f64_e32 v[16:17], v[6:7], v[48:49]
	v_add_f64_e32 v[24:25], v[6:7], v[50:51]
	v_add_f64_e32 v[28:29], v[6:7], v[34:35]
	v_add_f64_e32 v[34:35], v[4:5], v[32:33]
	v_add_f64_e32 v[32:33], v[6:7], v[52:53]
	v_add_f64_e32 v[38:39], v[6:7], v[38:39]
	v_add_f64_e32 v[48:49], v[0:1], v[216:217]
	scratch_store_b64 off, v[8:9], off offset:1056 ; 8-byte Folded Spill
	v_add_f64_e32 v[8:9], v[6:7], v[10:11]
	v_add_f64_e32 v[10:11], v[6:7], v[40:41]
	;; [unrolled: 1-line block ×3, first 2 shown]
	scratch_store_b64 off, v[8:9], off offset:1072 ; 8-byte Folded Spill
	v_add_f64_e32 v[8:9], v[4:5], v[20:21]
	v_add_f64_e64 v[4:5], v[2:3], -v[218:219]
	v_add_f64_e32 v[20:21], v[6:7], v[46:47]
	s_delay_alu instid0(VALU_DEP_2)
	v_mul_f64_e32 v[6:7], s[26:27], v[4:5]
	v_mul_f64_e32 v[12:13], s[34:35], v[4:5]
	;; [unrolled: 1-line block ×5, first 2 shown]
	v_fma_f64 v[50:51], v[48:49], s[14:15], -v[6:7]
	v_fma_f64 v[52:53], v[48:49], s[14:15], v[6:7]
	v_fma_f64 v[56:57], v[48:49], s[16:17], -v[12:13]
	v_fma_f64 v[12:13], v[48:49], s[16:17], v[12:13]
	v_fma_f64 v[58:59], v[48:49], s[18:19], -v[14:15]
	v_fma_f64 v[14:15], v[48:49], s[18:19], v[14:15]
	v_fma_f64 v[64:65], v[48:49], s[20:21], -v[46:47]
	v_fma_f64 v[46:47], v[48:49], s[20:21], v[46:47]
	v_fma_f64 v[72:73], v[48:49], s[24:25], -v[4:5]
	v_fma_f64 v[48:49], v[48:49], s[24:25], v[4:5]
	v_add_f64_e64 v[4:5], v[0:1], -v[216:217]
	s_delay_alu instid0(VALU_DEP_1)
	v_mul_f64_e32 v[6:7], s[26:27], v[4:5]
	v_mul_f64_e32 v[66:67], s[34:35], v[4:5]
	;; [unrolled: 1-line block ×5, first 2 shown]
	v_fma_f64 v[76:77], v[74:75], s[14:15], v[6:7]
	v_fma_f64 v[78:79], v[74:75], s[14:15], -v[6:7]
	v_fma_f64 v[244:245], v[74:75], s[16:17], v[66:67]
	v_fma_f64 v[160:161], v[74:75], s[20:21], v[70:71]
	;; [unrolled: 1-line block ×3, first 2 shown]
	v_fma_f64 v[166:167], v[74:75], s[24:25], -v[4:5]
	ds_load_b128 v[4:7], v254 offset:816
	v_fma_f64 v[162:163], v[74:75], s[20:21], -v[70:71]
	v_fma_f64 v[66:67], v[74:75], s[16:17], -v[66:67]
	v_fma_f64 v[252:253], v[74:75], s[18:19], v[68:69]
	v_fma_f64 v[68:69], v[74:75], s[18:19], -v[68:69]
	s_wait_dscnt 0x0
	v_add_f64_e32 v[70:71], v[4:5], v[46:47]
	v_add_f64_e64 v[46:47], v[94:95], -v[138:139]
	v_add_f64_e32 v[236:237], v[4:5], v[0:1]
	v_add_f64_e32 v[238:239], v[6:7], v[2:3]
	;; [unrolled: 1-line block ×8, first 2 shown]
	v_mul_f64_e32 v[14:15], s[28:29], v[184:185]
	v_add_f64_e32 v[168:169], v[6:7], v[76:77]
	v_add_f64_e32 v[76:77], v[4:5], v[48:49]
	;; [unrolled: 1-line block ×6, first 2 shown]
	v_add_f64_e64 v[164:165], v[86:87], -v[82:83]
	v_add_f64_e32 v[170:171], v[6:7], v[78:79]
	v_add_f64_e32 v[176:177], v[6:7], v[66:67]
	v_add_f64_e32 v[66:67], v[4:5], v[64:65]
	v_add_f64_e32 v[64:65], v[6:7], v[160:161]
	v_add_f64_e64 v[160:161], v[92:93], -v[136:137]
	v_add_f64_e32 v[56:57], v[6:7], v[68:69]
	v_add_f64_e32 v[68:69], v[6:7], v[162:163]
	;; [unrolled: 1-line block ×6, first 2 shown]
	v_mul_f64_e32 v[12:13], s[22:23], v[180:181]
	v_mul_f64_e32 v[0:1], s[34:35], v[46:47]
	s_delay_alu instid0(VALU_DEP_1) | instskip(SKIP_1) | instid1(VALU_DEP_2)
	v_fma_f64 v[2:3], v[48:49], s[16:17], -v[0:1]
	v_fma_f64 v[0:1], v[48:49], s[16:17], v[0:1]
	v_add_f64_e32 v[2:3], v[2:3], v[8:9]
	v_mul_f64_e32 v[8:9], s[34:35], v[160:161]
	s_delay_alu instid0(VALU_DEP_3) | instskip(SKIP_2) | instid1(VALU_DEP_3)
	v_add_f64_e32 v[0:1], v[0:1], v[22:23]
	s_wait_alu 0xfffe
	v_mul_f64_e32 v[22:23], s[42:43], v[164:165]
	v_fma_f64 v[4:5], v[162:163], s[16:17], v[8:9]
	v_fma_f64 v[8:9], v[162:163], s[16:17], -v[8:9]
	s_delay_alu instid0(VALU_DEP_2) | instskip(SKIP_1) | instid1(VALU_DEP_3)
	v_add_f64_e32 v[4:5], v[4:5], v[10:11]
	v_mul_f64_e32 v[10:11], s[22:23], v[164:165]
	v_add_f64_e32 v[8:9], v[8:9], v[132:133]
	s_delay_alu instid0(VALU_DEP_2) | instskip(SKIP_1) | instid1(VALU_DEP_2)
	v_fma_f64 v[6:7], v[166:167], s[18:19], -v[10:11]
	v_fma_f64 v[10:11], v[166:167], s[18:19], v[10:11]
	v_add_f64_e32 v[2:3], v[6:7], v[2:3]
	v_fma_f64 v[6:7], v[182:183], s[18:19], v[12:13]
	s_delay_alu instid0(VALU_DEP_3) | instskip(SKIP_1) | instid1(VALU_DEP_3)
	v_add_f64_e32 v[0:1], v[10:11], v[0:1]
	v_fma_f64 v[10:11], v[182:183], s[18:19], -v[12:13]
	v_add_f64_e32 v[4:5], v[6:7], v[4:5]
	v_fma_f64 v[6:7], v[186:187], s[20:21], -v[14:15]
	s_delay_alu instid0(VALU_DEP_3)
	v_add_f64_e32 v[8:9], v[10:11], v[8:9]
	v_fma_f64 v[10:11], v[186:187], s[20:21], v[14:15]
	v_fma_f64 v[14:15], v[166:167], s[24:25], -v[22:23]
	v_fma_f64 v[22:23], v[166:167], s[24:25], v[22:23]
	v_add_f64_e32 v[2:3], v[6:7], v[2:3]
	v_fma_f64 v[6:7], v[190:191], s[20:21], v[192:193]
	v_add_f64_e32 v[0:1], v[10:11], v[0:1]
	v_fma_f64 v[10:11], v[190:191], s[20:21], -v[192:193]
	v_mul_f64_e32 v[192:193], s[40:41], v[188:189]
	s_delay_alu instid0(VALU_DEP_4) | instskip(SKIP_1) | instid1(VALU_DEP_4)
	v_add_f64_e32 v[6:7], v[6:7], v[4:5]
	v_fma_f64 v[4:5], v[196:197], s[24:25], -v[198:199]
	v_add_f64_e32 v[8:9], v[10:11], v[8:9]
	v_fma_f64 v[10:11], v[196:197], s[24:25], v[198:199]
	v_mul_f64_e32 v[198:199], s[36:37], v[194:195]
	s_delay_alu instid0(VALU_DEP_4) | instskip(SKIP_1) | instid1(VALU_DEP_4)
	v_add_f64_e32 v[4:5], v[4:5], v[2:3]
	v_add_f64_e64 v[2:3], v[120:121], -v[124:125]
	v_add_f64_e32 v[132:133], v[10:11], v[0:1]
	v_mul_f64_e32 v[0:1], s[28:29], v[46:47]
	v_mul_f64_e32 v[10:11], s[28:29], v[160:161]
	s_delay_alu instid0(VALU_DEP_4) | instskip(NEXT) | instid1(VALU_DEP_1)
	v_mul_f64_e32 v[134:135], s[30:31], v[2:3]
	v_fma_f64 v[12:13], v[40:41], s[24:25], -v[134:135]
	v_fma_f64 v[241:242], v[40:41], s[24:25], v[134:135]
	s_delay_alu instid0(VALU_DEP_2)
	v_add_f64_e32 v[134:135], v[12:13], v[8:9]
	v_fma_f64 v[8:9], v[48:49], s[20:21], -v[0:1]
	v_fma_f64 v[12:13], v[162:163], s[20:21], v[10:11]
	v_fma_f64 v[0:1], v[48:49], s[20:21], v[0:1]
	v_fma_f64 v[10:11], v[162:163], s[20:21], -v[10:11]
	v_add_f64_e32 v[6:7], v[241:242], v[6:7]
	v_add_f64_e32 v[8:9], v[8:9], v[42:43]
	v_mul_f64_e32 v[42:43], s[42:43], v[180:181]
	v_add_f64_e32 v[12:13], v[12:13], v[44:45]
	v_mul_f64_e32 v[44:45], s[40:41], v[184:185]
	v_add_f64_e32 v[0:1], v[0:1], v[54:55]
	v_add_f64_e32 v[10:11], v[10:11], v[60:61]
	;; [unrolled: 1-line block ×3, first 2 shown]
	v_fma_f64 v[14:15], v[182:183], s[24:25], v[42:43]
	s_delay_alu instid0(VALU_DEP_4) | instskip(SKIP_1) | instid1(VALU_DEP_3)
	v_add_f64_e32 v[0:1], v[22:23], v[0:1]
	v_fma_f64 v[22:23], v[182:183], s[24:25], -v[42:43]
	v_add_f64_e32 v[12:13], v[14:15], v[12:13]
	v_fma_f64 v[14:15], v[186:187], s[18:19], -v[44:45]
	s_delay_alu instid0(VALU_DEP_3) | instskip(SKIP_1) | instid1(VALU_DEP_3)
	v_add_f64_e32 v[10:11], v[22:23], v[10:11]
	v_fma_f64 v[22:23], v[186:187], s[18:19], v[44:45]
	v_add_f64_e32 v[8:9], v[14:15], v[8:9]
	v_fma_f64 v[14:15], v[190:191], s[18:19], v[192:193]
	s_delay_alu instid0(VALU_DEP_3) | instskip(SKIP_1) | instid1(VALU_DEP_3)
	v_add_f64_e32 v[0:1], v[22:23], v[0:1]
	v_fma_f64 v[22:23], v[190:191], s[18:19], -v[192:193]
	v_add_f64_e32 v[14:15], v[14:15], v[12:13]
	v_fma_f64 v[12:13], v[196:197], s[14:15], -v[198:199]
	s_delay_alu instid0(VALU_DEP_3) | instskip(SKIP_2) | instid1(VALU_DEP_4)
	v_add_f64_e32 v[10:11], v[22:23], v[10:11]
	v_fma_f64 v[22:23], v[196:197], s[14:15], v[198:199]
	v_mul_f64_e32 v[198:199], s[28:29], v[194:195]
	v_add_f64_e32 v[12:13], v[12:13], v[8:9]
	v_mul_f64_e32 v[8:9], s[36:37], v[2:3]
	s_delay_alu instid0(VALU_DEP_1) | instskip(SKIP_3) | instid1(VALU_DEP_4)
	v_fma_f64 v[42:43], v[40:41], s[14:15], -v[8:9]
	v_fma_f64 v[241:242], v[40:41], s[14:15], v[8:9]
	v_add_f64_e32 v[8:9], v[22:23], v[0:1]
	v_mul_f64_e32 v[0:1], s[42:43], v[46:47]
	v_add_f64_e32 v[10:11], v[42:43], v[10:11]
	v_mul_f64_e32 v[42:43], s[42:43], v[160:161]
	v_add_f64_e32 v[14:15], v[241:242], v[14:15]
	s_delay_alu instid0(VALU_DEP_4) | instskip(SKIP_3) | instid1(VALU_DEP_4)
	v_fma_f64 v[22:23], v[48:49], s[24:25], -v[0:1]
	v_fma_f64 v[0:1], v[48:49], s[24:25], v[0:1]
	v_mul_f64_e32 v[241:242], s[28:29], v[2:3]
	v_fma_f64 v[44:45], v[162:163], s[24:25], v[42:43]
	v_add_f64_e32 v[22:23], v[22:23], v[62:63]
	s_delay_alu instid0(VALU_DEP_4) | instskip(SKIP_4) | instid1(VALU_DEP_4)
	v_add_f64_e32 v[0:1], v[0:1], v[18:19]
	v_fma_f64 v[18:19], v[162:163], s[24:25], -v[42:43]
	v_fma_f64 v[42:43], v[40:41], s[20:21], -v[241:242]
	v_add_f64_e32 v[20:21], v[44:45], v[20:21]
	v_mul_f64_e32 v[44:45], s[38:39], v[164:165]
	v_add_f64_e32 v[16:17], v[18:19], v[16:17]
	s_delay_alu instid0(VALU_DEP_2) | instskip(SKIP_1) | instid1(VALU_DEP_2)
	v_fma_f64 v[54:55], v[166:167], s[16:17], -v[44:45]
	v_fma_f64 v[18:19], v[166:167], s[16:17], v[44:45]
	v_add_f64_e32 v[22:23], v[54:55], v[22:23]
	v_mul_f64_e32 v[54:55], s[38:39], v[180:181]
	s_delay_alu instid0(VALU_DEP_3) | instskip(NEXT) | instid1(VALU_DEP_2)
	v_add_f64_e32 v[0:1], v[18:19], v[0:1]
	v_fma_f64 v[60:61], v[182:183], s[16:17], v[54:55]
	v_fma_f64 v[18:19], v[182:183], s[16:17], -v[54:55]
	s_delay_alu instid0(VALU_DEP_2) | instskip(SKIP_1) | instid1(VALU_DEP_3)
	v_add_f64_e32 v[20:21], v[60:61], v[20:21]
	v_mul_f64_e32 v[60:61], s[26:27], v[184:185]
	v_add_f64_e32 v[16:17], v[18:19], v[16:17]
	s_delay_alu instid0(VALU_DEP_2) | instskip(SKIP_1) | instid1(VALU_DEP_2)
	v_fma_f64 v[62:63], v[186:187], s[14:15], -v[60:61]
	v_fma_f64 v[18:19], v[186:187], s[14:15], v[60:61]
	v_add_f64_e32 v[22:23], v[62:63], v[22:23]
	v_mul_f64_e32 v[62:63], s[26:27], v[188:189]
	s_delay_alu instid0(VALU_DEP_3) | instskip(NEXT) | instid1(VALU_DEP_2)
	v_add_f64_e32 v[0:1], v[18:19], v[0:1]
	v_fma_f64 v[18:19], v[190:191], s[14:15], -v[62:63]
	v_fma_f64 v[192:193], v[190:191], s[14:15], v[62:63]
	s_delay_alu instid0(VALU_DEP_2) | instskip(SKIP_1) | instid1(VALU_DEP_3)
	v_add_f64_e32 v[18:19], v[18:19], v[16:17]
	v_fma_f64 v[16:17], v[196:197], s[20:21], v[198:199]
	v_add_f64_e32 v[192:193], v[192:193], v[20:21]
	v_fma_f64 v[20:21], v[196:197], s[20:21], -v[198:199]
	v_mul_f64_e32 v[198:199], s[38:39], v[194:195]
	v_add_f64_e32 v[18:19], v[42:43], v[18:19]
	v_add_f64_e32 v[16:17], v[16:17], v[0:1]
	v_mul_f64_e32 v[0:1], s[40:41], v[46:47]
	v_add_f64_e32 v[20:21], v[20:21], v[22:23]
	v_fma_f64 v[22:23], v[40:41], s[20:21], v[241:242]
	v_mul_f64_e32 v[241:242], s[38:39], v[2:3]
	v_mul_f64_e32 v[2:3], s[22:23], v[2:3]
	v_fma_f64 v[42:43], v[48:49], s[18:19], -v[0:1]
	v_fma_f64 v[0:1], v[48:49], s[18:19], v[0:1]
	v_add_f64_e32 v[22:23], v[22:23], v[192:193]
	s_delay_alu instid0(VALU_DEP_3) | instskip(SKIP_1) | instid1(VALU_DEP_4)
	v_add_f64_e32 v[26:27], v[42:43], v[26:27]
	v_mul_f64_e32 v[42:43], s[40:41], v[160:161]
	v_add_f64_e32 v[0:1], v[0:1], v[30:31]
	s_delay_alu instid0(VALU_DEP_2) | instskip(SKIP_2) | instid1(VALU_DEP_3)
	v_fma_f64 v[44:45], v[162:163], s[18:19], v[42:43]
	v_fma_f64 v[30:31], v[162:163], s[18:19], -v[42:43]
	v_fma_f64 v[42:43], v[40:41], s[16:17], -v[241:242]
	v_add_f64_e32 v[24:25], v[44:45], v[24:25]
	v_mul_f64_e32 v[44:45], s[26:27], v[164:165]
	s_delay_alu instid0(VALU_DEP_4) | instskip(NEXT) | instid1(VALU_DEP_2)
	v_add_f64_e32 v[28:29], v[30:31], v[28:29]
	v_fma_f64 v[54:55], v[166:167], s[14:15], -v[44:45]
	v_fma_f64 v[30:31], v[166:167], s[14:15], v[44:45]
	s_delay_alu instid0(VALU_DEP_2) | instskip(SKIP_1) | instid1(VALU_DEP_3)
	v_add_f64_e32 v[26:27], v[54:55], v[26:27]
	v_mul_f64_e32 v[54:55], s[26:27], v[180:181]
	v_add_f64_e32 v[0:1], v[30:31], v[0:1]
	s_delay_alu instid0(VALU_DEP_2) | instskip(SKIP_1) | instid1(VALU_DEP_2)
	v_fma_f64 v[60:61], v[182:183], s[14:15], v[54:55]
	v_fma_f64 v[30:31], v[182:183], s[14:15], -v[54:55]
	v_add_f64_e32 v[24:25], v[60:61], v[24:25]
	v_mul_f64_e32 v[60:61], s[30:31], v[184:185]
	s_delay_alu instid0(VALU_DEP_3) | instskip(NEXT) | instid1(VALU_DEP_2)
	v_add_f64_e32 v[28:29], v[30:31], v[28:29]
	v_fma_f64 v[62:63], v[186:187], s[24:25], -v[60:61]
	v_fma_f64 v[30:31], v[186:187], s[24:25], v[60:61]
	s_delay_alu instid0(VALU_DEP_2) | instskip(SKIP_1) | instid1(VALU_DEP_3)
	v_add_f64_e32 v[26:27], v[62:63], v[26:27]
	v_mul_f64_e32 v[62:63], s[30:31], v[188:189]
	v_add_f64_e32 v[0:1], v[30:31], v[0:1]
	s_delay_alu instid0(VALU_DEP_2) | instskip(SKIP_1) | instid1(VALU_DEP_2)
	v_fma_f64 v[30:31], v[190:191], s[24:25], -v[62:63]
	v_fma_f64 v[192:193], v[190:191], s[24:25], v[62:63]
	v_add_f64_e32 v[30:31], v[30:31], v[28:29]
	v_fma_f64 v[28:29], v[196:197], s[16:17], v[198:199]
	s_delay_alu instid0(VALU_DEP_3)
	v_add_f64_e32 v[192:193], v[192:193], v[24:25]
	v_fma_f64 v[24:25], v[196:197], s[16:17], -v[198:199]
	v_add_f64_e32 v[198:199], v[158:159], v[202:203]
	v_add_f64_e32 v[30:31], v[42:43], v[30:31]
	;; [unrolled: 1-line block ×3, first 2 shown]
	v_mul_f64_e32 v[0:1], s[36:37], v[46:47]
	v_add_f64_e32 v[24:25], v[24:25], v[26:27]
	v_fma_f64 v[26:27], v[40:41], s[16:17], v[241:242]
	s_delay_alu instid0(VALU_DEP_3) | instskip(SKIP_1) | instid1(VALU_DEP_3)
	v_fma_f64 v[42:43], v[48:49], s[14:15], -v[0:1]
	v_fma_f64 v[0:1], v[48:49], s[14:15], v[0:1]
	v_add_f64_e32 v[26:27], v[26:27], v[192:193]
	v_add_f64_e32 v[192:193], v[156:157], v[200:201]
	s_delay_alu instid0(VALU_DEP_4) | instskip(SKIP_3) | instid1(VALU_DEP_3)
	v_add_f64_e32 v[34:35], v[42:43], v[34:35]
	v_mul_f64_e32 v[42:43], s[36:37], v[160:161]
	v_add_f64_e32 v[0:1], v[0:1], v[36:37]
	v_mul_f64_e32 v[160:161], s[22:23], v[194:195]
	v_fma_f64 v[44:45], v[162:163], s[14:15], v[42:43]
	v_fma_f64 v[42:43], v[162:163], s[14:15], -v[42:43]
	v_add_f64_e32 v[162:163], v[146:147], v[214:215]
	s_delay_alu instid0(VALU_DEP_3) | instskip(SKIP_1) | instid1(VALU_DEP_4)
	v_add_f64_e32 v[32:33], v[44:45], v[32:33]
	v_mul_f64_e32 v[44:45], s[28:29], v[164:165]
	v_add_f64_e32 v[36:37], v[42:43], v[38:39]
	v_add_f64_e64 v[164:165], v[150:151], -v[210:211]
	s_delay_alu instid0(VALU_DEP_3) | instskip(SKIP_2) | instid1(VALU_DEP_3)
	v_fma_f64 v[46:47], v[166:167], s[20:21], -v[44:45]
	v_fma_f64 v[44:45], v[166:167], s[20:21], v[44:45]
	v_add_f64_e32 v[166:167], v[148:149], v[208:209]
	v_add_f64_e32 v[34:35], v[46:47], v[34:35]
	v_mul_f64_e32 v[46:47], s[28:29], v[180:181]
	s_delay_alu instid0(VALU_DEP_4) | instskip(SKIP_2) | instid1(VALU_DEP_4)
	v_add_f64_e32 v[0:1], v[44:45], v[0:1]
	v_fma_f64 v[44:45], v[196:197], s[18:19], v[160:161]
	v_add_f64_e32 v[180:181], v[150:151], v[210:211]
	v_fma_f64 v[54:55], v[182:183], s[20:21], v[46:47]
	v_fma_f64 v[46:47], v[182:183], s[20:21], -v[46:47]
	v_add_f64_e64 v[182:183], v[154:155], -v[206:207]
	s_delay_alu instid0(VALU_DEP_3) | instskip(SKIP_1) | instid1(VALU_DEP_4)
	v_add_f64_e32 v[32:33], v[54:55], v[32:33]
	v_mul_f64_e32 v[54:55], s[38:39], v[184:185]
	v_add_f64_e32 v[36:37], v[46:47], v[36:37]
	v_add_f64_e32 v[184:185], v[152:153], v[204:205]
	s_delay_alu instid0(VALU_DEP_3) | instskip(SKIP_2) | instid1(VALU_DEP_3)
	v_fma_f64 v[60:61], v[186:187], s[16:17], -v[54:55]
	v_fma_f64 v[38:39], v[186:187], s[16:17], v[54:55]
	v_add_f64_e64 v[186:187], v[152:153], -v[204:205]
	v_add_f64_e32 v[34:35], v[60:61], v[34:35]
	v_mul_f64_e32 v[60:61], s[38:39], v[188:189]
	s_delay_alu instid0(VALU_DEP_4) | instskip(SKIP_1) | instid1(VALU_DEP_3)
	v_add_f64_e32 v[0:1], v[38:39], v[0:1]
	v_add_f64_e32 v[188:189], v[154:155], v[206:207]
	v_fma_f64 v[62:63], v[190:191], s[16:17], v[60:61]
	v_fma_f64 v[42:43], v[190:191], s[16:17], -v[60:61]
	v_mul_f64_e32 v[60:61], s[28:29], v[182:183]
	v_add_f64_e64 v[190:191], v[158:159], -v[202:203]
	s_delay_alu instid0(VALU_DEP_4)
	v_add_f64_e32 v[62:63], v[62:63], v[32:33]
	v_fma_f64 v[32:33], v[196:197], s[18:19], -v[160:161]
	v_add_f64_e32 v[38:39], v[42:43], v[36:37]
	v_add_f64_e32 v[36:37], v[44:45], v[0:1]
	v_add_f64_e64 v[0:1], v[146:147], -v[214:215]
	v_add_f64_e64 v[160:161], v[144:145], -v[212:213]
	v_mul_f64_e32 v[194:195], s[30:31], v[190:191]
	v_add_f64_e64 v[196:197], v[156:157], -v[200:201]
	v_add_f64_e32 v[32:33], v[32:33], v[34:35]
	v_fma_f64 v[34:35], v[40:41], s[18:19], v[2:3]
	v_fma_f64 v[2:3], v[40:41], s[18:19], -v[2:3]
	v_mul_f64_e32 v[40:41], s[34:35], v[0:1]
	v_mul_f64_e32 v[48:49], s[34:35], v[160:161]
	s_delay_alu instid0(VALU_DEP_4) | instskip(NEXT) | instid1(VALU_DEP_4)
	v_add_f64_e32 v[34:35], v[34:35], v[62:63]
	v_add_f64_e32 v[38:39], v[2:3], v[38:39]
	;; [unrolled: 1-line block ×3, first 2 shown]
	s_delay_alu instid0(VALU_DEP_4) | instskip(SKIP_2) | instid1(VALU_DEP_4)
	v_fma_f64 v[44:45], v[162:163], s[16:17], v[48:49]
	v_mul_f64_e32 v[62:63], s[28:29], v[186:187]
	v_fma_f64 v[48:49], v[162:163], s[16:17], -v[48:49]
	v_fma_f64 v[42:43], v[2:3], s[16:17], -v[40:41]
	s_delay_alu instid0(VALU_DEP_4)
	v_add_f64_e32 v[44:45], v[44:45], v[168:169]
	v_add_f64_e64 v[168:169], v[148:149], -v[208:209]
	v_fma_f64 v[40:41], v[2:3], s[16:17], v[40:41]
	v_add_f64_e32 v[48:49], v[48:49], v[170:171]
	v_add_f64_e32 v[42:43], v[42:43], v[50:51]
	v_mul_f64_e32 v[50:51], s[22:23], v[164:165]
	v_mul_f64_e32 v[54:55], s[22:23], v[168:169]
	v_add_f64_e32 v[40:41], v[40:41], v[52:53]
	v_mul_f64_e32 v[170:171], s[42:43], v[168:169]
	s_delay_alu instid0(VALU_DEP_4) | instskip(SKIP_1) | instid1(VALU_DEP_2)
	v_fma_f64 v[46:47], v[166:167], s[18:19], -v[50:51]
	v_fma_f64 v[50:51], v[166:167], s[18:19], v[50:51]
	v_add_f64_e32 v[42:43], v[46:47], v[42:43]
	v_fma_f64 v[46:47], v[180:181], s[18:19], v[54:55]
	s_delay_alu instid0(VALU_DEP_3) | instskip(SKIP_1) | instid1(VALU_DEP_3)
	v_add_f64_e32 v[40:41], v[50:51], v[40:41]
	v_fma_f64 v[50:51], v[180:181], s[18:19], -v[54:55]
	v_add_f64_e32 v[44:45], v[46:47], v[44:45]
	v_fma_f64 v[46:47], v[184:185], s[20:21], -v[60:61]
	s_delay_alu instid0(VALU_DEP_3) | instskip(SKIP_2) | instid1(VALU_DEP_4)
	v_add_f64_e32 v[48:49], v[50:51], v[48:49]
	v_fma_f64 v[50:51], v[184:185], s[20:21], v[60:61]
	v_mul_f64_e32 v[60:61], s[28:29], v[160:161]
	v_add_f64_e32 v[42:43], v[46:47], v[42:43]
	v_fma_f64 v[46:47], v[188:189], s[20:21], v[62:63]
	s_delay_alu instid0(VALU_DEP_4)
	v_add_f64_e32 v[40:41], v[50:51], v[40:41]
	v_fma_f64 v[50:51], v[188:189], s[20:21], -v[62:63]
	v_mul_f64_e32 v[62:63], s[42:43], v[164:165]
	v_fma_f64 v[52:53], v[162:163], s[20:21], v[60:61]
	v_fma_f64 v[60:61], v[162:163], s[20:21], -v[60:61]
	v_add_f64_e32 v[46:47], v[46:47], v[44:45]
	v_fma_f64 v[44:45], v[192:193], s[24:25], -v[194:195]
	v_add_f64_e32 v[48:49], v[50:51], v[48:49]
	v_fma_f64 v[50:51], v[192:193], s[24:25], v[194:195]
	v_fma_f64 v[54:55], v[166:167], s[24:25], -v[62:63]
	v_add_f64_e32 v[52:53], v[52:53], v[174:175]
	v_mul_f64_e32 v[174:175], s[40:41], v[186:187]
	v_fma_f64 v[62:63], v[166:167], s[24:25], v[62:63]
	v_mul_f64_e32 v[194:195], s[36:37], v[190:191]
	v_add_f64_e32 v[60:61], v[60:61], v[176:177]
	v_add_f64_e32 v[44:45], v[44:45], v[42:43]
	v_mul_f64_e32 v[42:43], s[30:31], v[196:197]
	v_add_f64_e32 v[40:41], v[50:51], v[40:41]
	s_delay_alu instid0(VALU_DEP_2) | instskip(SKIP_1) | instid1(VALU_DEP_2)
	v_fma_f64 v[241:242], v[198:199], s[24:25], v[42:43]
	v_fma_f64 v[42:43], v[198:199], s[24:25], -v[42:43]
	v_add_f64_e32 v[46:47], v[241:242], v[46:47]
	s_delay_alu instid0(VALU_DEP_2) | instskip(SKIP_1) | instid1(VALU_DEP_1)
	v_add_f64_e32 v[42:43], v[42:43], v[48:49]
	v_mul_f64_e32 v[48:49], s[28:29], v[0:1]
	v_fma_f64 v[50:51], v[2:3], s[20:21], -v[48:49]
	v_fma_f64 v[48:49], v[2:3], s[20:21], v[48:49]
	s_delay_alu instid0(VALU_DEP_2) | instskip(SKIP_1) | instid1(VALU_DEP_3)
	v_add_f64_e32 v[50:51], v[50:51], v[172:173]
	v_mul_f64_e32 v[172:173], s[40:41], v[182:183]
	v_add_f64_e32 v[48:49], v[48:49], v[244:245]
	s_delay_alu instid0(VALU_DEP_3) | instskip(SKIP_1) | instid1(VALU_DEP_3)
	v_add_f64_e32 v[50:51], v[54:55], v[50:51]
	v_fma_f64 v[54:55], v[180:181], s[24:25], v[170:171]
	v_add_f64_e32 v[48:49], v[62:63], v[48:49]
	v_fma_f64 v[62:63], v[180:181], s[24:25], -v[170:171]
	v_mul_f64_e32 v[170:171], s[42:43], v[0:1]
	s_delay_alu instid0(VALU_DEP_4) | instskip(SKIP_1) | instid1(VALU_DEP_4)
	v_add_f64_e32 v[52:53], v[54:55], v[52:53]
	v_fma_f64 v[54:55], v[184:185], s[18:19], -v[172:173]
	v_add_f64_e32 v[60:61], v[62:63], v[60:61]
	v_fma_f64 v[62:63], v[184:185], s[18:19], v[172:173]
	v_mul_f64_e32 v[172:173], s[42:43], v[160:161]
	s_delay_alu instid0(VALU_DEP_4) | instskip(SKIP_1) | instid1(VALU_DEP_4)
	v_add_f64_e32 v[50:51], v[54:55], v[50:51]
	v_fma_f64 v[54:55], v[188:189], s[18:19], v[174:175]
	v_add_f64_e32 v[48:49], v[62:63], v[48:49]
	v_fma_f64 v[62:63], v[188:189], s[18:19], -v[174:175]
	v_mul_f64_e32 v[174:175], s[38:39], v[164:165]
	s_delay_alu instid0(VALU_DEP_4) | instskip(SKIP_1) | instid1(VALU_DEP_4)
	v_add_f64_e32 v[54:55], v[54:55], v[52:53]
	v_fma_f64 v[52:53], v[192:193], s[14:15], -v[194:195]
	v_add_f64_e32 v[60:61], v[62:63], v[60:61]
	v_fma_f64 v[62:63], v[192:193], s[14:15], v[194:195]
	v_fma_f64 v[176:177], v[166:167], s[16:17], -v[174:175]
	s_delay_alu instid0(VALU_DEP_4) | instskip(SKIP_1) | instid1(VALU_DEP_4)
	v_add_f64_e32 v[52:53], v[52:53], v[50:51]
	v_mul_f64_e32 v[50:51], s[36:37], v[196:197]
	v_add_f64_e32 v[48:49], v[62:63], v[48:49]
	v_fma_f64 v[62:63], v[162:163], s[24:25], v[172:173]
	s_delay_alu instid0(VALU_DEP_3) | instskip(SKIP_1) | instid1(VALU_DEP_3)
	v_fma_f64 v[241:242], v[198:199], s[14:15], v[50:51]
	v_fma_f64 v[50:51], v[198:199], s[14:15], -v[50:51]
	v_add_f64_e32 v[62:63], v[62:63], v[252:253]
	s_delay_alu instid0(VALU_DEP_3) | instskip(NEXT) | instid1(VALU_DEP_3)
	v_add_f64_e32 v[54:55], v[241:242], v[54:55]
	v_add_f64_e32 v[50:51], v[50:51], v[60:61]
	v_fma_f64 v[60:61], v[2:3], s[24:25], -v[170:171]
	v_fma_f64 v[170:171], v[2:3], s[24:25], v[170:171]
	s_delay_alu instid0(VALU_DEP_2) | instskip(NEXT) | instid1(VALU_DEP_2)
	v_add_f64_e32 v[60:61], v[60:61], v[178:179]
	v_add_f64_e32 v[58:59], v[170:171], v[58:59]
	v_fma_f64 v[170:171], v[162:163], s[24:25], -v[172:173]
	s_delay_alu instid0(VALU_DEP_3) | instskip(SKIP_1) | instid1(VALU_DEP_3)
	v_add_f64_e32 v[60:61], v[176:177], v[60:61]
	v_mul_f64_e32 v[176:177], s[38:39], v[168:169]
	v_add_f64_e32 v[56:57], v[170:171], v[56:57]
	v_fma_f64 v[170:171], v[166:167], s[16:17], v[174:175]
	s_delay_alu instid0(VALU_DEP_3) | instskip(NEXT) | instid1(VALU_DEP_2)
	v_fma_f64 v[178:179], v[180:181], s[16:17], v[176:177]
	v_add_f64_e32 v[58:59], v[170:171], v[58:59]
	v_fma_f64 v[170:171], v[180:181], s[16:17], -v[176:177]
	s_delay_alu instid0(VALU_DEP_3) | instskip(SKIP_1) | instid1(VALU_DEP_3)
	v_add_f64_e32 v[62:63], v[178:179], v[62:63]
	v_mul_f64_e32 v[178:179], s[26:27], v[182:183]
	v_add_f64_e32 v[56:57], v[170:171], v[56:57]
	s_delay_alu instid0(VALU_DEP_2) | instskip(SKIP_1) | instid1(VALU_DEP_2)
	v_fma_f64 v[194:195], v[184:185], s[14:15], -v[178:179]
	v_fma_f64 v[170:171], v[184:185], s[14:15], v[178:179]
	v_add_f64_e32 v[60:61], v[194:195], v[60:61]
	v_mul_f64_e32 v[194:195], s[26:27], v[186:187]
	s_delay_alu instid0(VALU_DEP_3) | instskip(NEXT) | instid1(VALU_DEP_2)
	v_add_f64_e32 v[58:59], v[170:171], v[58:59]
	v_fma_f64 v[241:242], v[188:189], s[14:15], v[194:195]
	v_fma_f64 v[170:171], v[188:189], s[14:15], -v[194:195]
	s_delay_alu instid0(VALU_DEP_2) | instskip(SKIP_1) | instid1(VALU_DEP_3)
	v_add_f64_e32 v[62:63], v[241:242], v[62:63]
	v_mul_f64_e32 v[241:242], s[28:29], v[190:191]
	v_add_f64_e32 v[170:171], v[170:171], v[56:57]
	s_delay_alu instid0(VALU_DEP_2) | instskip(SKIP_1) | instid1(VALU_DEP_2)
	v_fma_f64 v[244:245], v[192:193], s[20:21], -v[241:242]
	v_fma_f64 v[56:57], v[192:193], s[20:21], v[241:242]
	v_add_f64_e32 v[60:61], v[244:245], v[60:61]
	v_mul_f64_e32 v[244:245], s[28:29], v[196:197]
	s_delay_alu instid0(VALU_DEP_3) | instskip(NEXT) | instid1(VALU_DEP_2)
	v_add_f64_e32 v[56:57], v[56:57], v[58:59]
	v_fma_f64 v[172:173], v[198:199], s[20:21], -v[244:245]
	v_fma_f64 v[252:253], v[198:199], s[20:21], v[244:245]
	v_mul_f64_e32 v[244:245], s[38:39], v[190:191]
	s_delay_alu instid0(VALU_DEP_3) | instskip(SKIP_1) | instid1(VALU_DEP_4)
	v_add_f64_e32 v[58:59], v[172:173], v[170:171]
	v_mul_f64_e32 v[170:171], s[40:41], v[0:1]
	v_add_f64_e32 v[62:63], v[252:253], v[62:63]
	v_mul_f64_e32 v[252:253], s[38:39], v[196:197]
	v_mul_f64_e32 v[0:1], s[36:37], v[0:1]
	s_delay_alu instid0(VALU_DEP_4) | instskip(SKIP_1) | instid1(VALU_DEP_2)
	v_fma_f64 v[172:173], v[2:3], s[18:19], -v[170:171]
	v_fma_f64 v[170:171], v[2:3], s[18:19], v[170:171]
	v_add_f64_e32 v[66:67], v[172:173], v[66:67]
	v_mul_f64_e32 v[172:173], s[40:41], v[160:161]
	s_delay_alu instid0(VALU_DEP_3) | instskip(SKIP_1) | instid1(VALU_DEP_3)
	v_add_f64_e32 v[70:71], v[170:171], v[70:71]
	v_mul_f64_e32 v[160:161], s[36:37], v[160:161]
	v_fma_f64 v[174:175], v[162:163], s[18:19], v[172:173]
	v_fma_f64 v[170:171], v[162:163], s[18:19], -v[172:173]
	v_fma_f64 v[172:173], v[198:199], s[16:17], -v[252:253]
	s_delay_alu instid0(VALU_DEP_3) | instskip(SKIP_1) | instid1(VALU_DEP_4)
	v_add_f64_e32 v[64:65], v[174:175], v[64:65]
	v_mul_f64_e32 v[174:175], s[26:27], v[164:165]
	v_add_f64_e32 v[68:69], v[170:171], v[68:69]
	v_mul_f64_e32 v[164:165], s[28:29], v[164:165]
	s_delay_alu instid0(VALU_DEP_3) | instskip(SKIP_1) | instid1(VALU_DEP_2)
	v_fma_f64 v[176:177], v[166:167], s[14:15], -v[174:175]
	v_fma_f64 v[170:171], v[166:167], s[14:15], v[174:175]
	v_add_f64_e32 v[66:67], v[176:177], v[66:67]
	v_mul_f64_e32 v[176:177], s[26:27], v[168:169]
	s_delay_alu instid0(VALU_DEP_3) | instskip(SKIP_1) | instid1(VALU_DEP_3)
	v_add_f64_e32 v[70:71], v[170:171], v[70:71]
	v_mul_f64_e32 v[168:169], s[28:29], v[168:169]
	v_fma_f64 v[178:179], v[180:181], s[14:15], v[176:177]
	v_fma_f64 v[170:171], v[180:181], s[14:15], -v[176:177]
	v_mul_f64_e32 v[176:177], s[22:23], v[190:191]
	s_delay_alu instid0(VALU_DEP_3) | instskip(SKIP_1) | instid1(VALU_DEP_4)
	v_add_f64_e32 v[64:65], v[178:179], v[64:65]
	v_mul_f64_e32 v[178:179], s[30:31], v[182:183]
	v_add_f64_e32 v[68:69], v[170:171], v[68:69]
	s_delay_alu instid0(VALU_DEP_2) | instskip(SKIP_2) | instid1(VALU_DEP_3)
	v_fma_f64 v[194:195], v[184:185], s[24:25], -v[178:179]
	v_fma_f64 v[170:171], v[184:185], s[24:25], v[178:179]
	v_mul_f64_e32 v[178:179], s[22:23], v[196:197]
	v_add_f64_e32 v[66:67], v[194:195], v[66:67]
	v_mul_f64_e32 v[194:195], s[30:31], v[186:187]
	s_delay_alu instid0(VALU_DEP_4) | instskip(NEXT) | instid1(VALU_DEP_2)
	v_add_f64_e32 v[70:71], v[170:171], v[70:71]
	v_fma_f64 v[170:171], v[188:189], s[24:25], -v[194:195]
	v_fma_f64 v[241:242], v[188:189], s[24:25], v[194:195]
	s_delay_alu instid0(VALU_DEP_2) | instskip(SKIP_1) | instid1(VALU_DEP_3)
	v_add_f64_e32 v[170:171], v[170:171], v[68:69]
	v_fma_f64 v[68:69], v[192:193], s[16:17], v[244:245]
	v_add_f64_e32 v[241:242], v[241:242], v[64:65]
	v_fma_f64 v[64:65], v[192:193], s[16:17], -v[244:245]
	s_delay_alu instid0(VALU_DEP_3)
	v_add_f64_e32 v[68:69], v[68:69], v[70:71]
	v_add_f64_e32 v[70:71], v[172:173], v[170:171]
	v_fma_f64 v[170:171], v[2:3], s[14:15], -v[0:1]
	v_fma_f64 v[0:1], v[2:3], s[14:15], v[0:1]
	v_fma_f64 v[2:3], v[162:163], s[14:15], -v[160:161]
	v_add_f64_e32 v[64:65], v[64:65], v[66:67]
	v_fma_f64 v[66:67], v[198:199], s[16:17], v[252:253]
	v_add_f64_e32 v[74:75], v[170:171], v[74:75]
	v_fma_f64 v[170:171], v[162:163], s[14:15], v[160:161]
	v_add_f64_e32 v[0:1], v[0:1], v[76:77]
	v_add_f64_e32 v[2:3], v[2:3], v[78:79]
	v_fma_f64 v[76:77], v[166:167], s[20:21], v[164:165]
	v_fma_f64 v[78:79], v[180:181], s[20:21], -v[168:169]
	v_add_f64_e32 v[66:67], v[66:67], v[241:242]
	v_add_f64_e32 v[72:73], v[170:171], v[72:73]
	v_fma_f64 v[170:171], v[166:167], s[20:21], -v[164:165]
	v_add_f64_e32 v[164:165], v[112:113], v[222:223]
	v_add_f64_e32 v[0:1], v[76:77], v[0:1]
	;; [unrolled: 1-line block ×5, first 2 shown]
	v_fma_f64 v[170:171], v[180:181], s[20:21], v[168:169]
	v_add_f64_e32 v[168:169], v[104:105], v[116:117]
	v_add_f64_e64 v[180:181], v[247:248], -v[98:99]
	s_delay_alu instid0(VALU_DEP_3) | instskip(SKIP_2) | instid1(VALU_DEP_4)
	v_add_f64_e32 v[72:73], v[170:171], v[72:73]
	v_mul_f64_e32 v[170:171], s[38:39], v[182:183]
	v_add_f64_e32 v[182:183], v[247:248], v[98:99]
	v_mul_f64_e32 v[194:195], s[36:37], v[180:181]
	s_delay_alu instid0(VALU_DEP_3) | instskip(SKIP_3) | instid1(VALU_DEP_4)
	v_fma_f64 v[172:173], v[184:185], s[16:17], -v[170:171]
	v_fma_f64 v[76:77], v[184:185], s[16:17], v[170:171]
	v_add_f64_e64 v[170:171], v[104:105], -v[116:117]
	v_add_f64_e32 v[184:185], v[232:233], v[96:97]
	v_add_f64_e32 v[74:75], v[172:173], v[74:75]
	v_mul_f64_e32 v[172:173], s[38:39], v[186:187]
	v_add_f64_e32 v[0:1], v[76:77], v[0:1]
	v_fma_f64 v[76:77], v[192:193], s[18:19], v[176:177]
	v_add_f64_e64 v[186:187], v[232:233], -v[96:97]
	s_delay_alu instid0(VALU_DEP_4) | instskip(SKIP_1) | instid1(VALU_DEP_4)
	v_fma_f64 v[78:79], v[188:189], s[16:17], -v[172:173]
	v_fma_f64 v[174:175], v[188:189], s[16:17], v[172:173]
	v_add_f64_e32 v[76:77], v[76:77], v[0:1]
	scratch_load_b64 v[0:1], off, off offset:1056 th:TH_LOAD_LU ; 8-byte Folded Reload
	v_add_f64_e64 v[172:173], v[102:103], -v[110:111]
	v_mul_f64_e32 v[188:189], s[42:43], v[170:171]
	v_mul_f64_e32 v[196:197], s[36:37], v[186:187]
	v_add_f64_e32 v[2:3], v[78:79], v[2:3]
	v_fma_f64 v[78:79], v[198:199], s[18:19], -v[178:179]
	v_add_f64_e32 v[174:175], v[174:175], v[72:73]
	v_fma_f64 v[72:73], v[192:193], s[18:19], -v[176:177]
	v_add_f64_e32 v[176:177], v[100:101], v[106:107]
	v_mul_f64_e32 v[190:191], s[40:41], v[172:173]
	v_add_f64_e32 v[78:79], v[78:79], v[2:3]
	scratch_load_b64 v[2:3], off, off offset:1072 th:TH_LOAD_LU ; 8-byte Folded Reload
	v_add_f64_e32 v[72:73], v[72:73], v[74:75]
	v_fma_f64 v[74:75], v[198:199], s[18:19], v[178:179]
	v_add_f64_e64 v[178:179], v[100:101], -v[106:107]
	s_delay_alu instid0(VALU_DEP_2) | instskip(SKIP_1) | instid1(VALU_DEP_3)
	v_add_f64_e32 v[74:75], v[74:75], v[174:175]
	v_add_f64_e32 v[174:175], v[102:103], v[110:111]
	v_mul_f64_e32 v[192:193], s[40:41], v[178:179]
	s_wait_loadcnt 0x1
	v_add_f64_e32 v[0:1], v[0:1], v[92:93]
	v_add_f64_e64 v[92:93], v[224:225], -v[230:231]
	s_delay_alu instid0(VALU_DEP_2) | instskip(SKIP_2) | instid1(VALU_DEP_2)
	v_add_f64_e32 v[0:1], v[0:1], v[84:85]
	s_wait_loadcnt 0x0
	v_add_f64_e32 v[2:3], v[2:3], v[94:95]
	v_add_f64_e32 v[0:1], v[0:1], v[88:89]
	;; [unrolled: 1-line block ×3, first 2 shown]
	s_delay_alu instid0(VALU_DEP_3) | instskip(NEXT) | instid1(VALU_DEP_3)
	v_add_f64_e32 v[2:3], v[2:3], v[86:87]
	v_add_f64_e32 v[0:1], v[0:1], v[120:121]
	s_delay_alu instid0(VALU_DEP_2) | instskip(NEXT) | instid1(VALU_DEP_2)
	v_add_f64_e32 v[2:3], v[2:3], v[90:91]
	v_add_f64_e32 v[0:1], v[0:1], v[124:125]
	v_mul_f64_e32 v[124:125], s[26:27], v[92:93]
	s_delay_alu instid0(VALU_DEP_3) | instskip(NEXT) | instid1(VALU_DEP_3)
	v_add_f64_e32 v[2:3], v[2:3], v[122:123]
	v_add_f64_e32 v[0:1], v[0:1], v[128:129]
	ds_load_b128 v[120:123], v254 offset:1632
	v_mul_f64_e32 v[128:129], s[22:23], v[92:93]
	global_wb scope:SCOPE_SE
	s_wait_storecnt_dscnt 0x0
	s_barrier_signal -1
	s_barrier_wait -1
	global_inv scope:SCOPE_SE
	v_add_f64_e32 v[2:3], v[2:3], v[126:127]
	v_add_f64_e32 v[0:1], v[0:1], v[80:81]
	v_mul_f64_e32 v[126:127], s[34:35], v[92:93]
	s_delay_alu instid0(VALU_DEP_3) | instskip(NEXT) | instid1(VALU_DEP_3)
	v_add_f64_e32 v[2:3], v[2:3], v[130:131]
	v_add_f64_e32 v[0:1], v[0:1], v[136:137]
	v_mul_f64_e32 v[130:131], s[28:29], v[92:93]
	v_mul_f64_e32 v[92:93], s[30:31], v[92:93]
	s_delay_alu instid0(VALU_DEP_4) | instskip(NEXT) | instid1(VALU_DEP_4)
	v_add_f64_e32 v[2:3], v[2:3], v[82:83]
	v_add_f64_e32 v[88:89], v[0:1], v[140:141]
	;; [unrolled: 1-line block ×3, first 2 shown]
	s_delay_alu instid0(VALU_DEP_3) | instskip(NEXT) | instid1(VALU_DEP_2)
	v_add_f64_e32 v[2:3], v[2:3], v[138:139]
	v_add_f64_e32 v[0:1], v[0:1], v[148:149]
	s_delay_alu instid0(VALU_DEP_2) | instskip(SKIP_1) | instid1(VALU_DEP_3)
	v_add_f64_e32 v[90:91], v[2:3], v[142:143]
	v_add_f64_e32 v[2:3], v[238:239], v[146:147]
	;; [unrolled: 1-line block ×3, first 2 shown]
	s_delay_alu instid0(VALU_DEP_2) | instskip(NEXT) | instid1(VALU_DEP_2)
	v_add_f64_e32 v[2:3], v[2:3], v[150:151]
	v_add_f64_e32 v[0:1], v[0:1], v[156:157]
	s_delay_alu instid0(VALU_DEP_2) | instskip(NEXT) | instid1(VALU_DEP_2)
	v_add_f64_e32 v[2:3], v[2:3], v[154:155]
	v_add_f64_e32 v[0:1], v[0:1], v[200:201]
	;; [unrolled: 3-line block ×6, first 2 shown]
	v_add_f64_e32 v[0:1], v[122:123], v[224:225]
	s_delay_alu instid0(VALU_DEP_3) | instskip(NEXT) | instid1(VALU_DEP_2)
	v_add_f64_e32 v[2:3], v[2:3], v[214:215]
	v_add_f64_e32 v[0:1], v[0:1], v[114:115]
	s_delay_alu instid0(VALU_DEP_2) | instskip(SKIP_1) | instid1(VALU_DEP_3)
	v_add_f64_e32 v[86:87], v[2:3], v[218:219]
	v_add_f64_e32 v[2:3], v[120:121], v[220:221]
	v_add_f64_e32 v[0:1], v[0:1], v[108:109]
	ds_store_b128 v254, v[88:91]
	ds_store_b128 v254, v[4:7] offset:816
	ds_store_b128 v254, v[12:15] offset:1632
	;; [unrolled: 1-line block ×21, first 2 shown]
	v_lshlrev_b32_e32 v9, 5, v246
	v_lshlrev_b32_e32 v17, 5, v234
	v_add_f64_e32 v[2:3], v[2:3], v[112:113]
	v_add_f64_e32 v[0:1], v[0:1], v[102:103]
	s_delay_alu instid0(VALU_DEP_2) | instskip(NEXT) | instid1(VALU_DEP_2)
	v_add_f64_e32 v[2:3], v[2:3], v[104:105]
	v_add_f64_e32 v[0:1], v[0:1], v[247:248]
	s_delay_alu instid0(VALU_DEP_2) | instskip(NEXT) | instid1(VALU_DEP_2)
	v_add_f64_e32 v[2:3], v[2:3], v[100:101]
	v_add_f64_e32 v[0:1], v[0:1], v[98:99]
	v_mul_f64_e32 v[100:101], s[28:29], v[172:173]
	s_delay_alu instid0(VALU_DEP_3) | instskip(NEXT) | instid1(VALU_DEP_3)
	v_add_f64_e32 v[2:3], v[2:3], v[232:233]
	v_add_f64_e32 v[0:1], v[0:1], v[110:111]
	s_delay_alu instid0(VALU_DEP_3) | instskip(SKIP_1) | instid1(VALU_DEP_4)
	v_fma_f64 v[102:103], v[176:177], s[20:21], -v[100:101]
	v_fma_f64 v[100:101], v[176:177], s[20:21], v[100:101]
	v_add_f64_e32 v[2:3], v[2:3], v[96:97]
	s_delay_alu instid0(VALU_DEP_4) | instskip(SKIP_1) | instid1(VALU_DEP_3)
	v_add_f64_e32 v[0:1], v[0:1], v[118:119]
	v_mul_f64_e32 v[96:97], s[30:31], v[180:181]
	v_add_f64_e32 v[2:3], v[2:3], v[106:107]
	s_delay_alu instid0(VALU_DEP_3) | instskip(NEXT) | instid1(VALU_DEP_3)
	v_add_f64_e32 v[0:1], v[0:1], v[226:227]
	v_fma_f64 v[98:99], v[184:185], s[24:25], -v[96:97]
	v_fma_f64 v[96:97], v[184:185], s[24:25], v[96:97]
	s_delay_alu instid0(VALU_DEP_4) | instskip(NEXT) | instid1(VALU_DEP_4)
	v_add_f64_e32 v[2:3], v[2:3], v[116:117]
	v_add_f64_e32 v[82:83], v[0:1], v[230:231]
	;; [unrolled: 1-line block ×3, first 2 shown]
	s_delay_alu instid0(VALU_DEP_3) | instskip(NEXT) | instid1(VALU_DEP_2)
	v_add_f64_e32 v[2:3], v[2:3], v[222:223]
	v_fma_f64 v[136:137], v[0:1], s[14:15], -v[124:125]
	v_fma_f64 v[124:125], v[0:1], s[14:15], v[124:125]
	v_fma_f64 v[138:139], v[0:1], s[16:17], -v[126:127]
	v_fma_f64 v[126:127], v[0:1], s[16:17], v[126:127]
	;; [unrolled: 2-line block ×5, first 2 shown]
	v_add_f64_e32 v[80:81], v[2:3], v[228:229]
	v_add_f64_e64 v[2:3], v[220:221], -v[228:229]
	v_add_f64_e32 v[124:125], v[120:121], v[124:125]
	v_add_f64_e32 v[138:139], v[120:121], v[138:139]
	;; [unrolled: 1-line block ×9, first 2 shown]
	v_mul_f64_e32 v[92:93], s[26:27], v[2:3]
	v_mul_f64_e32 v[146:147], s[34:35], v[2:3]
	v_mul_f64_e32 v[148:149], s[22:23], v[2:3]
	v_mul_f64_e32 v[150:151], s[28:29], v[2:3]
	v_mul_f64_e32 v[2:3], s[30:31], v[2:3]
	v_fma_f64 v[152:153], v[94:95], s[14:15], v[92:93]
	v_fma_f64 v[92:93], v[94:95], s[14:15], -v[92:93]
	v_fma_f64 v[154:155], v[94:95], s[16:17], v[146:147]
	v_fma_f64 v[146:147], v[94:95], s[16:17], -v[146:147]
	;; [unrolled: 2-line block ×5, first 2 shown]
	v_add_f64_e32 v[94:95], v[120:121], v[136:137]
	v_add_f64_e64 v[120:121], v[114:115], -v[226:227]
	v_add_f64_e32 v[136:137], v[122:123], v[152:153]
	v_add_f64_e32 v[152:153], v[122:123], v[92:93]
	;; [unrolled: 1-line block ×10, first 2 shown]
	v_add_f64_e64 v[122:123], v[112:113], -v[222:223]
	v_mul_f64_e32 v[112:113], s[34:35], v[120:121]
	v_add_f64_e32 v[160:161], v[114:115], v[226:227]
	s_delay_alu instid0(VALU_DEP_3) | instskip(NEXT) | instid1(VALU_DEP_3)
	v_mul_f64_e32 v[114:115], s[34:35], v[122:123]
	v_fma_f64 v[92:93], v[164:165], s[16:17], -v[112:113]
	s_delay_alu instid0(VALU_DEP_2) | instskip(NEXT) | instid1(VALU_DEP_2)
	v_fma_f64 v[110:111], v[160:161], s[16:17], -v[114:115]
	v_add_f64_e32 v[92:93], v[92:93], v[94:95]
	v_fma_f64 v[94:95], v[160:161], s[16:17], v[114:115]
	s_delay_alu instid0(VALU_DEP_3) | instskip(SKIP_1) | instid1(VALU_DEP_3)
	v_add_f64_e32 v[110:111], v[110:111], v[152:153]
	v_mul_f64_e32 v[152:153], s[28:29], v[120:121]
	v_add_f64_e32 v[94:95], v[94:95], v[136:137]
	v_add_f64_e64 v[136:137], v[108:109], -v[118:119]
	s_delay_alu instid0(VALU_DEP_1) | instskip(NEXT) | instid1(VALU_DEP_1)
	v_mul_f64_e32 v[104:105], s[22:23], v[136:137]
	v_fma_f64 v[108:109], v[168:169], s[18:19], -v[104:105]
	v_fma_f64 v[104:105], v[168:169], s[18:19], v[104:105]
	s_delay_alu instid0(VALU_DEP_2) | instskip(SKIP_1) | instid1(VALU_DEP_2)
	v_add_f64_e32 v[92:93], v[108:109], v[92:93]
	v_mul_f64_e32 v[108:109], s[22:23], v[170:171]
	v_add_f64_e32 v[92:93], v[102:103], v[92:93]
	s_delay_alu instid0(VALU_DEP_2) | instskip(SKIP_1) | instid1(VALU_DEP_3)
	v_fma_f64 v[116:117], v[166:167], s[18:19], v[108:109]
	v_mul_f64_e32 v[102:103], s[28:29], v[178:179]
	v_add_f64_e32 v[92:93], v[98:99], v[92:93]
	s_delay_alu instid0(VALU_DEP_3) | instskip(NEXT) | instid1(VALU_DEP_3)
	v_add_f64_e32 v[94:95], v[116:117], v[94:95]
	v_fma_f64 v[106:107], v[174:175], s[20:21], v[102:103]
	v_mul_f64_e32 v[98:99], s[30:31], v[186:187]
	v_fma_f64 v[102:103], v[174:175], s[20:21], -v[102:103]
	s_delay_alu instid0(VALU_DEP_3) | instskip(NEXT) | instid1(VALU_DEP_3)
	v_add_f64_e32 v[94:95], v[106:107], v[94:95]
	v_fma_f64 v[106:107], v[182:183], s[24:25], v[98:99]
	v_fma_f64 v[98:99], v[182:183], s[24:25], -v[98:99]
	s_delay_alu instid0(VALU_DEP_2) | instskip(SKIP_2) | instid1(VALU_DEP_2)
	v_add_f64_e32 v[94:95], v[106:107], v[94:95]
	v_fma_f64 v[106:107], v[164:165], s[16:17], v[112:113]
	v_mul_f64_e32 v[112:113], s[38:39], v[136:137]
	v_add_f64_e32 v[106:107], v[106:107], v[124:125]
	s_delay_alu instid0(VALU_DEP_2) | instskip(SKIP_1) | instid1(VALU_DEP_3)
	v_fma_f64 v[114:115], v[168:169], s[16:17], -v[112:113]
	v_fma_f64 v[112:113], v[168:169], s[16:17], v[112:113]
	v_add_f64_e32 v[104:105], v[104:105], v[106:107]
	v_fma_f64 v[106:107], v[166:167], s[18:19], -v[108:109]
	v_mul_f64_e32 v[108:109], s[42:43], v[120:121]
	s_delay_alu instid0(VALU_DEP_3) | instskip(NEXT) | instid1(VALU_DEP_3)
	v_add_f64_e32 v[100:101], v[100:101], v[104:105]
	v_add_f64_e32 v[106:107], v[106:107], v[110:111]
	v_mul_f64_e32 v[110:111], s[42:43], v[122:123]
	s_delay_alu instid0(VALU_DEP_3) | instskip(SKIP_1) | instid1(VALU_DEP_4)
	v_add_f64_e32 v[96:97], v[96:97], v[100:101]
	v_fma_f64 v[100:101], v[164:165], s[20:21], -v[152:153]
	v_add_f64_e32 v[102:103], v[102:103], v[106:107]
	s_delay_alu instid0(VALU_DEP_4) | instskip(SKIP_1) | instid1(VALU_DEP_4)
	v_fma_f64 v[106:107], v[160:161], s[24:25], v[110:111]
	v_fma_f64 v[110:111], v[160:161], s[24:25], -v[110:111]
	v_add_f64_e32 v[100:101], v[100:101], v[138:139]
	v_mul_f64_e32 v[138:139], s[28:29], v[122:123]
	v_add_f64_e32 v[98:99], v[98:99], v[102:103]
	v_add_f64_e32 v[106:107], v[106:107], v[140:141]
	;; [unrolled: 1-line block ×3, first 2 shown]
	s_delay_alu instid0(VALU_DEP_4) | instskip(NEXT) | instid1(VALU_DEP_1)
	v_fma_f64 v[102:103], v[160:161], s[20:21], v[138:139]
	v_add_f64_e32 v[102:103], v[102:103], v[154:155]
	v_mul_f64_e32 v[154:155], s[42:43], v[136:137]
	s_delay_alu instid0(VALU_DEP_1) | instskip(NEXT) | instid1(VALU_DEP_1)
	v_fma_f64 v[104:105], v[168:169], s[24:25], -v[154:155]
	v_add_f64_e32 v[100:101], v[104:105], v[100:101]
	v_fma_f64 v[104:105], v[166:167], s[24:25], v[188:189]
	s_delay_alu instid0(VALU_DEP_1) | instskip(SKIP_1) | instid1(VALU_DEP_1)
	v_add_f64_e32 v[102:103], v[104:105], v[102:103]
	v_fma_f64 v[104:105], v[176:177], s[18:19], -v[190:191]
	v_add_f64_e32 v[100:101], v[104:105], v[100:101]
	v_fma_f64 v[104:105], v[174:175], s[18:19], v[192:193]
	s_delay_alu instid0(VALU_DEP_1) | instskip(SKIP_1) | instid1(VALU_DEP_1)
	v_add_f64_e32 v[102:103], v[104:105], v[102:103]
	v_fma_f64 v[104:105], v[184:185], s[14:15], -v[194:195]
	v_add_f64_e32 v[100:101], v[104:105], v[100:101]
	v_fma_f64 v[104:105], v[182:183], s[14:15], v[196:197]
	s_delay_alu instid0(VALU_DEP_1) | instskip(SKIP_2) | instid1(VALU_DEP_2)
	v_add_f64_e32 v[102:103], v[104:105], v[102:103]
	v_fma_f64 v[104:105], v[164:165], s[24:25], -v[108:109]
	v_fma_f64 v[108:109], v[164:165], s[24:25], v[108:109]
	v_add_f64_e32 v[104:105], v[104:105], v[126:127]
	s_delay_alu instid0(VALU_DEP_2) | instskip(NEXT) | instid1(VALU_DEP_2)
	v_add_f64_e32 v[108:109], v[108:109], v[128:129]
	v_add_f64_e32 v[104:105], v[114:115], v[104:105]
	v_mul_f64_e32 v[114:115], s[38:39], v[170:171]
	s_delay_alu instid0(VALU_DEP_3) | instskip(NEXT) | instid1(VALU_DEP_2)
	v_add_f64_e32 v[108:109], v[112:113], v[108:109]
	v_fma_f64 v[116:117], v[166:167], s[16:17], v[114:115]
	v_fma_f64 v[112:113], v[166:167], s[16:17], -v[114:115]
	s_delay_alu instid0(VALU_DEP_2) | instskip(SKIP_1) | instid1(VALU_DEP_3)
	v_add_f64_e32 v[106:107], v[116:117], v[106:107]
	v_mul_f64_e32 v[116:117], s[26:27], v[172:173]
	v_add_f64_e32 v[110:111], v[112:113], v[110:111]
	s_delay_alu instid0(VALU_DEP_2) | instskip(SKIP_2) | instid1(VALU_DEP_3)
	v_fma_f64 v[118:119], v[176:177], s[14:15], -v[116:117]
	v_fma_f64 v[112:113], v[176:177], s[14:15], v[116:117]
	v_mul_f64_e32 v[116:117], s[40:41], v[120:121]
	v_add_f64_e32 v[104:105], v[118:119], v[104:105]
	v_mul_f64_e32 v[118:119], s[26:27], v[178:179]
	s_delay_alu instid0(VALU_DEP_4) | instskip(NEXT) | instid1(VALU_DEP_2)
	v_add_f64_e32 v[108:109], v[112:113], v[108:109]
	v_fma_f64 v[124:125], v[174:175], s[14:15], v[118:119]
	v_fma_f64 v[112:113], v[174:175], s[14:15], -v[118:119]
	v_mul_f64_e32 v[118:119], s[40:41], v[122:123]
	s_delay_alu instid0(VALU_DEP_3) | instskip(SKIP_1) | instid1(VALU_DEP_4)
	v_add_f64_e32 v[106:107], v[124:125], v[106:107]
	v_mul_f64_e32 v[124:125], s[28:29], v[180:181]
	v_add_f64_e32 v[110:111], v[112:113], v[110:111]
	s_delay_alu instid0(VALU_DEP_2) | instskip(SKIP_2) | instid1(VALU_DEP_3)
	v_fma_f64 v[126:127], v[184:185], s[20:21], -v[124:125]
	v_fma_f64 v[112:113], v[184:185], s[20:21], v[124:125]
	v_mul_f64_e32 v[124:125], s[26:27], v[136:137]
	v_add_f64_e32 v[104:105], v[126:127], v[104:105]
	v_mul_f64_e32 v[126:127], s[28:29], v[186:187]
	s_delay_alu instid0(VALU_DEP_4) | instskip(SKIP_2) | instid1(VALU_DEP_4)
	v_add_f64_e32 v[108:109], v[112:113], v[108:109]
	v_fma_f64 v[112:113], v[164:165], s[18:19], -v[116:117]
	v_fma_f64 v[116:117], v[164:165], s[18:19], v[116:117]
	v_fma_f64 v[140:141], v[182:183], s[20:21], v[126:127]
	v_fma_f64 v[114:115], v[182:183], s[20:21], -v[126:127]
	s_delay_alu instid0(VALU_DEP_4)
	v_add_f64_e32 v[112:113], v[112:113], v[142:143]
	v_fma_f64 v[126:127], v[168:169], s[14:15], -v[124:125]
	v_add_f64_e32 v[116:117], v[116:117], v[130:131]
	v_fma_f64 v[124:125], v[168:169], s[14:15], v[124:125]
	v_add_f64_e32 v[106:107], v[140:141], v[106:107]
	v_add_f64_e32 v[110:111], v[114:115], v[110:111]
	v_fma_f64 v[114:115], v[160:161], s[18:19], v[118:119]
	v_add_f64_e32 v[112:113], v[126:127], v[112:113]
	v_mul_f64_e32 v[126:127], s[26:27], v[170:171]
	v_fma_f64 v[118:119], v[160:161], s[18:19], -v[118:119]
	v_add_f64_e32 v[116:117], v[124:125], v[116:117]
	v_add_f64_e32 v[114:115], v[114:115], v[156:157]
	s_delay_alu instid0(VALU_DEP_4) | instskip(NEXT) | instid1(VALU_DEP_4)
	v_fma_f64 v[128:129], v[166:167], s[14:15], v[126:127]
	v_add_f64_e32 v[118:119], v[118:119], v[150:151]
	v_fma_f64 v[124:125], v[166:167], s[14:15], -v[126:127]
	s_delay_alu instid0(VALU_DEP_3) | instskip(SKIP_1) | instid1(VALU_DEP_3)
	v_add_f64_e32 v[114:115], v[128:129], v[114:115]
	v_mul_f64_e32 v[128:129], s[30:31], v[172:173]
	v_add_f64_e32 v[118:119], v[124:125], v[118:119]
	s_delay_alu instid0(VALU_DEP_2) | instskip(SKIP_2) | instid1(VALU_DEP_3)
	v_fma_f64 v[140:141], v[176:177], s[24:25], -v[128:129]
	v_fma_f64 v[124:125], v[176:177], s[24:25], v[128:129]
	v_mul_f64_e32 v[128:129], s[28:29], v[136:137]
	v_add_f64_e32 v[112:113], v[140:141], v[112:113]
	v_mul_f64_e32 v[140:141], s[30:31], v[178:179]
	s_delay_alu instid0(VALU_DEP_4) | instskip(NEXT) | instid1(VALU_DEP_4)
	v_add_f64_e32 v[116:117], v[124:125], v[116:117]
	v_fma_f64 v[130:131], v[168:169], s[20:21], -v[128:129]
	s_delay_alu instid0(VALU_DEP_3) | instskip(SKIP_1) | instid1(VALU_DEP_2)
	v_fma_f64 v[142:143], v[174:175], s[24:25], v[140:141]
	v_fma_f64 v[124:125], v[174:175], s[24:25], -v[140:141]
	v_add_f64_e32 v[114:115], v[142:143], v[114:115]
	v_mul_f64_e32 v[142:143], s[38:39], v[180:181]
	s_delay_alu instid0(VALU_DEP_3) | instskip(NEXT) | instid1(VALU_DEP_2)
	v_add_f64_e32 v[118:119], v[124:125], v[118:119]
	v_fma_f64 v[148:149], v[184:185], s[16:17], -v[142:143]
	v_fma_f64 v[124:125], v[184:185], s[16:17], v[142:143]
	s_delay_alu instid0(VALU_DEP_2) | instskip(SKIP_1) | instid1(VALU_DEP_3)
	v_add_f64_e32 v[112:113], v[148:149], v[112:113]
	v_mul_f64_e32 v[148:149], s[38:39], v[186:187]
	v_add_f64_e32 v[116:117], v[124:125], v[116:117]
	v_mul_f64_e32 v[124:125], s[36:37], v[120:121]
	s_delay_alu instid0(VALU_DEP_3) | instskip(SKIP_1) | instid1(VALU_DEP_3)
	v_fma_f64 v[126:127], v[182:183], s[16:17], -v[148:149]
	v_fma_f64 v[156:157], v[182:183], s[16:17], v[148:149]
	v_fma_f64 v[120:121], v[164:165], s[14:15], -v[124:125]
	v_fma_f64 v[124:125], v[164:165], s[14:15], v[124:125]
	s_delay_alu instid0(VALU_DEP_4) | instskip(SKIP_1) | instid1(VALU_DEP_4)
	v_add_f64_e32 v[118:119], v[126:127], v[118:119]
	v_mul_f64_e32 v[126:127], s[36:37], v[122:123]
	v_add_f64_e32 v[120:121], v[120:121], v[144:145]
	s_delay_alu instid0(VALU_DEP_4)
	v_add_f64_e32 v[0:1], v[124:125], v[0:1]
	v_mul_f64_e32 v[144:145], s[22:23], v[186:187]
	v_add_f64_e32 v[114:115], v[156:157], v[114:115]
	v_fma_f64 v[122:123], v[160:161], s[14:15], v[126:127]
	v_add_f64_e32 v[120:121], v[130:131], v[120:121]
	v_mul_f64_e32 v[130:131], s[28:29], v[170:171]
	v_fma_f64 v[124:125], v[160:161], s[14:15], -v[126:127]
	v_fma_f64 v[126:127], v[182:183], s[18:19], -v[144:145]
	v_add_f64_e32 v[122:123], v[122:123], v[158:159]
	s_delay_alu instid0(VALU_DEP_4) | instskip(NEXT) | instid1(VALU_DEP_4)
	v_fma_f64 v[136:137], v[166:167], s[20:21], v[130:131]
	v_add_f64_e32 v[2:3], v[124:125], v[2:3]
	v_fma_f64 v[124:125], v[168:169], s[20:21], v[128:129]
	v_fma_f64 v[128:129], v[168:169], s[24:25], v[154:155]
	s_delay_alu instid0(VALU_DEP_4) | instskip(SKIP_1) | instid1(VALU_DEP_4)
	v_add_f64_e32 v[122:123], v[136:137], v[122:123]
	v_mul_f64_e32 v[136:137], s[38:39], v[172:173]
	v_add_f64_e32 v[0:1], v[124:125], v[0:1]
	v_fma_f64 v[124:125], v[166:167], s[20:21], -v[130:131]
	v_fma_f64 v[130:131], v[166:167], s[24:25], -v[188:189]
	s_delay_alu instid0(VALU_DEP_4) | instskip(NEXT) | instid1(VALU_DEP_3)
	v_fma_f64 v[140:141], v[176:177], s[16:17], -v[136:137]
	v_add_f64_e32 v[2:3], v[124:125], v[2:3]
	v_fma_f64 v[124:125], v[176:177], s[16:17], v[136:137]
	s_delay_alu instid0(VALU_DEP_3) | instskip(SKIP_1) | instid1(VALU_DEP_3)
	v_add_f64_e32 v[120:121], v[140:141], v[120:121]
	v_mul_f64_e32 v[140:141], s[38:39], v[178:179]
	v_add_f64_e32 v[0:1], v[124:125], v[0:1]
	s_delay_alu instid0(VALU_DEP_2) | instskip(SKIP_1) | instid1(VALU_DEP_2)
	v_fma_f64 v[142:143], v[174:175], s[16:17], v[140:141]
	v_fma_f64 v[124:125], v[174:175], s[16:17], -v[140:141]
	v_add_f64_e32 v[122:123], v[142:143], v[122:123]
	v_mul_f64_e32 v[142:143], s[22:23], v[180:181]
	s_delay_alu instid0(VALU_DEP_3) | instskip(NEXT) | instid1(VALU_DEP_2)
	v_add_f64_e32 v[2:3], v[124:125], v[2:3]
	v_fma_f64 v[124:125], v[184:185], s[18:19], v[142:143]
	s_delay_alu instid0(VALU_DEP_2) | instskip(SKIP_2) | instid1(VALU_DEP_4)
	v_add_f64_e32 v[126:127], v[126:127], v[2:3]
	v_fma_f64 v[2:3], v[160:161], s[20:21], -v[138:139]
	v_fma_f64 v[148:149], v[184:185], s[18:19], -v[142:143]
	v_add_f64_e32 v[124:125], v[124:125], v[0:1]
	v_fma_f64 v[0:1], v[164:165], s[20:21], v[152:153]
	s_delay_alu instid0(VALU_DEP_4) | instskip(NEXT) | instid1(VALU_DEP_4)
	v_add_f64_e32 v[2:3], v[2:3], v[146:147]
	v_add_f64_e32 v[120:121], v[148:149], v[120:121]
	v_fma_f64 v[148:149], v[182:183], s[18:19], v[144:145]
	s_delay_alu instid0(VALU_DEP_4) | instskip(NEXT) | instid1(VALU_DEP_4)
	v_add_f64_e32 v[0:1], v[0:1], v[162:163]
	v_add_f64_e32 v[2:3], v[130:131], v[2:3]
	v_fma_f64 v[130:131], v[174:175], s[18:19], -v[192:193]
	s_delay_alu instid0(VALU_DEP_4) | instskip(NEXT) | instid1(VALU_DEP_4)
	v_add_f64_e32 v[122:123], v[148:149], v[122:123]
	v_add_f64_e32 v[0:1], v[128:129], v[0:1]
	v_fma_f64 v[128:129], v[176:177], s[18:19], v[190:191]
	s_delay_alu instid0(VALU_DEP_4) | instskip(SKIP_1) | instid1(VALU_DEP_3)
	v_add_f64_e32 v[2:3], v[130:131], v[2:3]
	v_fma_f64 v[130:131], v[182:183], s[14:15], -v[196:197]
	v_add_f64_e32 v[0:1], v[128:129], v[0:1]
	v_fma_f64 v[128:129], v[184:185], s[14:15], v[194:195]
	s_delay_alu instid0(VALU_DEP_3) | instskip(NEXT) | instid1(VALU_DEP_2)
	v_add_f64_e32 v[130:131], v[130:131], v[2:3]
	v_add_f64_e32 v[128:129], v[128:129], v[0:1]
	scratch_load_b32 v0, off, off offset:984 th:TH_LOAD_LU ; 4-byte Folded Reload
	s_wait_loadcnt 0x0
	v_lshlrev_b32_e32 v0, 4, v0
	ds_store_b128 v0, v[80:83] offset:17952
	ds_store_b128 v0, v[92:95] offset:18768
	;; [unrolled: 1-line block ×11, first 2 shown]
	global_wb scope:SCOPE_SE
	s_wait_dscnt 0x0
	s_barrier_signal -1
	s_barrier_wait -1
	global_inv scope:SCOPE_SE
	s_clause 0x1
	global_load_b128 v[10:13], v9, s[0:1] offset:8704
	global_load_b128 v[18:21], v17, s[0:1] offset:8704
	ds_load_b128 v[1:4], v254 offset:8976
	s_wait_loadcnt_dscnt 0x100
	v_mul_f64_e32 v[5:6], v[3:4], v[12:13]
	scratch_store_b128 off, v[10:13], off offset:984 ; 16-byte Folded Spill
	s_wait_loadcnt 0x0
	scratch_store_b128 off, v[18:21], off offset:1140 ; 16-byte Folded Spill
	v_fma_f64 v[5:6], v[1:2], v[10:11], -v[5:6]
	v_mul_f64_e32 v[1:2], v[1:2], v[12:13]
	s_delay_alu instid0(VALU_DEP_1)
	v_fma_f64 v[7:8], v[3:4], v[10:11], v[1:2]
	global_load_b128 v[11:14], v9, s[0:1] offset:8720
	ds_load_b128 v[1:4], v254 offset:17952
	s_wait_loadcnt_dscnt 0x0
	v_mul_f64_e32 v[9:10], v[3:4], v[13:14]
	scratch_store_b128 off, v[11:14], off offset:1172 ; 16-byte Folded Spill
	v_fma_f64 v[9:10], v[1:2], v[11:12], -v[9:10]
	v_mul_f64_e32 v[1:2], v[1:2], v[13:14]
	s_delay_alu instid0(VALU_DEP_2) | instskip(NEXT) | instid1(VALU_DEP_2)
	v_add_f64_e32 v[136:137], v[5:6], v[9:10]
	v_fma_f64 v[11:12], v[3:4], v[11:12], v[1:2]
	ds_load_b128 v[1:4], v254 offset:9792
	s_wait_dscnt 0x0
	v_mul_f64_e32 v[13:14], v[3:4], v[20:21]
	s_delay_alu instid0(VALU_DEP_1) | instskip(SKIP_1) | instid1(VALU_DEP_1)
	v_fma_f64 v[13:14], v[1:2], v[18:19], -v[13:14]
	v_mul_f64_e32 v[1:2], v[1:2], v[20:21]
	v_fma_f64 v[15:16], v[3:4], v[18:19], v[1:2]
	global_load_b128 v[19:22], v17, s[0:1] offset:8720
	ds_load_b128 v[1:4], v254 offset:18768
	s_wait_loadcnt_dscnt 0x0
	v_mul_f64_e32 v[17:18], v[3:4], v[21:22]
	scratch_store_b128 off, v[19:22], off offset:1252 ; 16-byte Folded Spill
	v_fma_f64 v[17:18], v[1:2], v[19:20], -v[17:18]
	v_mul_f64_e32 v[1:2], v[1:2], v[21:22]
	s_delay_alu instid0(VALU_DEP_1)
	v_fma_f64 v[76:77], v[3:4], v[19:20], v[1:2]
	v_lshlrev_b32_e32 v19, 5, v240
	ds_load_b128 v[1:4], v254 offset:10608
	global_load_b128 v[20:23], v19, s[0:1] offset:8704
	s_wait_loadcnt_dscnt 0x0
	v_mul_f64_e32 v[24:25], v[3:4], v[22:23]
	scratch_store_b128 off, v[20:23], off offset:1220 ; 16-byte Folded Spill
	v_fma_f64 v[78:79], v[1:2], v[20:21], -v[24:25]
	v_mul_f64_e32 v[1:2], v[1:2], v[22:23]
	s_delay_alu instid0(VALU_DEP_1)
	v_fma_f64 v[80:81], v[3:4], v[20:21], v[1:2]
	global_load_b128 v[19:22], v19, s[0:1] offset:8720
	ds_load_b128 v[1:4], v254 offset:19584
	s_wait_loadcnt_dscnt 0x0
	v_mul_f64_e32 v[24:25], v[3:4], v[21:22]
	scratch_store_b128 off, v[19:22], off offset:1204 ; 16-byte Folded Spill
	v_fma_f64 v[82:83], v[1:2], v[19:20], -v[24:25]
	v_mul_f64_e32 v[1:2], v[1:2], v[21:22]
	s_delay_alu instid0(VALU_DEP_1)
	v_fma_f64 v[84:85], v[3:4], v[19:20], v[1:2]
	scratch_load_b32 v1, off, off offset:1004 th:TH_LOAD_LU ; 4-byte Folded Reload
	s_wait_loadcnt 0x0
	v_lshlrev_b32_e32 v19, 5, v1
	ds_load_b128 v[1:4], v254 offset:11424
	global_load_b128 v[20:23], v19, s[0:1] offset:8704
	s_wait_loadcnt_dscnt 0x0
	v_mul_f64_e32 v[24:25], v[3:4], v[22:23]
	scratch_store_b128 off, v[20:23], off offset:1268 ; 16-byte Folded Spill
	v_fma_f64 v[86:87], v[1:2], v[20:21], -v[24:25]
	v_mul_f64_e32 v[1:2], v[1:2], v[22:23]
	s_delay_alu instid0(VALU_DEP_1)
	v_fma_f64 v[88:89], v[3:4], v[20:21], v[1:2]
	global_load_b128 v[19:22], v19, s[0:1] offset:8720
	ds_load_b128 v[1:4], v254 offset:20400
	s_wait_loadcnt_dscnt 0x0
	v_mul_f64_e32 v[24:25], v[3:4], v[21:22]
	scratch_store_b128 off, v[19:22], off offset:1288 ; 16-byte Folded Spill
	v_fma_f64 v[90:91], v[1:2], v[19:20], -v[24:25]
	v_mul_f64_e32 v[1:2], v[1:2], v[21:22]
	s_delay_alu instid0(VALU_DEP_1)
	v_fma_f64 v[92:93], v[3:4], v[19:20], v[1:2]
	scratch_load_b32 v1, off, off offset:1024 th:TH_LOAD_LU ; 4-byte Folded Reload
	s_wait_loadcnt 0x0
	;; [unrolled: 21-line block ×3, first 2 shown]
	v_lshlrev_b32_e32 v19, 5, v1
	ds_load_b128 v[1:4], v254 offset:13056
	global_load_b128 v[20:23], v19, s[0:1] offset:8704
	s_wait_loadcnt_dscnt 0x0
	v_mul_f64_e32 v[24:25], v[3:4], v[22:23]
	scratch_store_b128 off, v[20:23], off offset:1336 ; 16-byte Folded Spill
	v_fma_f64 v[102:103], v[1:2], v[20:21], -v[24:25]
	v_mul_f64_e32 v[1:2], v[1:2], v[22:23]
	s_delay_alu instid0(VALU_DEP_1)
	v_fma_f64 v[104:105], v[3:4], v[20:21], v[1:2]
	global_load_b128 v[19:22], v19, s[0:1] offset:8720
	ds_load_b128 v[1:4], v254 offset:22032
	s_wait_loadcnt_dscnt 0x0
	v_mul_f64_e32 v[24:25], v[3:4], v[21:22]
	scratch_store_b128 off, v[19:22], off offset:1236 ; 16-byte Folded Spill
	v_fma_f64 v[106:107], v[1:2], v[19:20], -v[24:25]
	v_mul_f64_e32 v[1:2], v[1:2], v[21:22]
	s_delay_alu instid0(VALU_DEP_1)
	v_fma_f64 v[108:109], v[3:4], v[19:20], v[1:2]
	v_lshlrev_b32_e32 v19, 5, v251
	ds_load_b128 v[1:4], v254 offset:13872
	global_load_b128 v[20:23], v19, s[0:1] offset:8704
	s_wait_loadcnt_dscnt 0x0
	v_mul_f64_e32 v[24:25], v[3:4], v[22:23]
	scratch_store_b128 off, v[20:23], off offset:1188 ; 16-byte Folded Spill
	v_fma_f64 v[110:111], v[1:2], v[20:21], -v[24:25]
	v_mul_f64_e32 v[1:2], v[1:2], v[22:23]
	s_delay_alu instid0(VALU_DEP_1)
	v_fma_f64 v[112:113], v[3:4], v[20:21], v[1:2]
	global_load_b128 v[19:22], v19, s[0:1] offset:8720
	ds_load_b128 v[1:4], v254 offset:22848
	s_wait_loadcnt_dscnt 0x0
	v_mul_f64_e32 v[72:73], v[3:4], v[21:22]
	scratch_store_b128 off, v[19:22], off offset:1156 ; 16-byte Folded Spill
	v_fma_f64 v[114:115], v[1:2], v[19:20], -v[72:73]
	v_mul_f64_e32 v[1:2], v[1:2], v[21:22]
	s_delay_alu instid0(VALU_DEP_1)
	v_fma_f64 v[116:117], v[3:4], v[19:20], v[1:2]
	;; [unrolled: 19-line block ×4, first 2 shown]
	v_lshlrev_b32_e32 v19, 5, v249
	ds_load_b128 v[1:4], v254 offset:16320
	global_load_b128 v[20:23], v19, s[0:1] offset:8704
	scratch_store_b32 off, v234, off offset:1708 ; 4-byte Folded Spill
	s_wait_loadcnt 0x0
	scratch_store_b128 off, v[20:23], off offset:1004 ; 16-byte Folded Spill
	s_wait_dscnt 0x0
	v_mul_f64_e32 v[72:73], v[3:4], v[22:23]
	s_delay_alu instid0(VALU_DEP_1) | instskip(SKIP_1) | instid1(VALU_DEP_1)
	v_fma_f64 v[134:135], v[1:2], v[20:21], -v[72:73]
	v_mul_f64_e32 v[1:2], v[1:2], v[22:23]
	v_fma_f64 v[160:161], v[3:4], v[20:21], v[1:2]
	global_load_b128 v[19:22], v19, s[0:1] offset:8720
	ds_load_b128 v[1:4], v254 offset:25296
	s_wait_loadcnt_dscnt 0x0
	v_mul_f64_e32 v[72:73], v[3:4], v[21:22]
	scratch_store_b128 off, v[19:22], off offset:1024 ; 16-byte Folded Spill
	v_fma_f64 v[162:163], v[1:2], v[19:20], -v[72:73]
	v_mul_f64_e32 v[1:2], v[1:2], v[21:22]
	s_delay_alu instid0(VALU_DEP_1)
	v_fma_f64 v[164:165], v[3:4], v[19:20], v[1:2]
	v_lshlrev_b32_e32 v19, 5, v250
	ds_load_b128 v[1:4], v254 offset:17136
	global_load_b128 v[20:23], v19, s[0:1] offset:8704
	s_wait_loadcnt_dscnt 0x0
	v_mul_f64_e32 v[72:73], v[3:4], v[22:23]
	scratch_store_b128 off, v[20:23], off offset:1040 ; 16-byte Folded Spill
	v_fma_f64 v[166:167], v[1:2], v[20:21], -v[72:73]
	v_mul_f64_e32 v[1:2], v[1:2], v[22:23]
	ds_load_b128 v[72:75], v254 offset:26112
	v_fma_f64 v[1:2], v[3:4], v[20:21], v[1:2]
	global_load_b128 v[19:22], v19, s[0:1] offset:8720
	s_add_nc_u64 s[0:1], s[12:13], 0x6930
	s_wait_loadcnt_dscnt 0x0
	v_mul_f64_e32 v[3:4], v[74:75], v[21:22]
	scratch_store_b128 off, v[19:22], off offset:1072 ; 16-byte Folded Spill
	v_fma_f64 v[3:4], v[72:73], v[19:20], -v[3:4]
	v_mul_f64_e32 v[72:73], v[72:73], v[21:22]
	s_delay_alu instid0(VALU_DEP_1)
	v_fma_f64 v[168:169], v[74:75], v[19:20], v[72:73]
	ds_load_b128 v[72:75], v254
	s_wait_dscnt 0x0
	v_fma_f64 v[142:143], v[136:137], -0.5, v[72:73]
	v_add_f64_e32 v[136:137], v[7:8], v[11:12]
	v_add_f64_e32 v[72:73], v[72:73], v[5:6]
	v_add_f64_e64 v[5:6], v[5:6], -v[9:10]
	s_delay_alu instid0(VALU_DEP_3) | instskip(SKIP_3) | instid1(VALU_DEP_3)
	v_fma_f64 v[146:147], v[136:137], -0.5, v[74:75]
	v_add_f64_e32 v[74:75], v[74:75], v[7:8]
	v_add_f64_e64 v[7:8], v[7:8], -v[11:12]
	v_add_f64_e32 v[136:137], v[72:73], v[9:10]
	v_add_f64_e32 v[138:139], v[74:75], v[11:12]
	ds_load_b128 v[72:75], v254 offset:816
	v_fma_f64 v[140:141], v[7:8], s[2:3], v[142:143]
	v_fma_f64 v[144:145], v[7:8], s[8:9], v[142:143]
	;; [unrolled: 1-line block ×4, first 2 shown]
	v_add_f64_e32 v[5:6], v[13:14], v[17:18]
	v_add_f64_e32 v[7:8], v[15:16], v[76:77]
	s_wait_dscnt 0x0
	v_add_f64_e32 v[9:10], v[74:75], v[15:16]
	v_add_f64_e64 v[15:16], v[15:16], -v[76:77]
	v_add_f64_e32 v[11:12], v[72:73], v[13:14]
	v_fma_f64 v[5:6], v[5:6], -0.5, v[72:73]
	v_fma_f64 v[7:8], v[7:8], -0.5, v[74:75]
	ds_load_b128 v[72:75], v254 offset:1632
	v_add_f64_e32 v[150:151], v[9:10], v[76:77]
	v_add_f64_e64 v[9:10], v[13:14], -v[17:18]
	v_add_f64_e64 v[13:14], v[80:81], -v[84:85]
	v_add_f64_e32 v[148:149], v[11:12], v[17:18]
	s_wait_dscnt 0x0
	v_add_f64_e32 v[11:12], v[72:73], v[78:79]
	v_fma_f64 v[152:153], v[15:16], s[2:3], v[5:6]
	v_fma_f64 v[156:157], v[15:16], s[8:9], v[5:6]
	v_add_f64_e32 v[5:6], v[78:79], v[82:83]
	v_fma_f64 v[154:155], v[9:10], s[8:9], v[7:8]
	v_fma_f64 v[158:159], v[9:10], s[2:3], v[7:8]
	v_add_f64_e32 v[7:8], v[80:81], v[84:85]
	v_add_f64_e32 v[9:10], v[74:75], v[80:81]
	;; [unrolled: 1-line block ×3, first 2 shown]
	v_fma_f64 v[5:6], v[5:6], -0.5, v[72:73]
	s_delay_alu instid0(VALU_DEP_4) | instskip(NEXT) | instid1(VALU_DEP_4)
	v_fma_f64 v[7:8], v[7:8], -0.5, v[74:75]
	v_add_f64_e32 v[202:203], v[9:10], v[84:85]
	v_add_f64_e64 v[9:10], v[78:79], -v[82:83]
	ds_load_b128 v[72:75], v254 offset:2448
	ds_load_b128 v[76:79], v254 offset:4896
	v_fma_f64 v[204:205], v[13:14], s[2:3], v[5:6]
	v_fma_f64 v[208:209], v[13:14], s[8:9], v[5:6]
	v_add_f64_e32 v[5:6], v[86:87], v[90:91]
	s_wait_dscnt 0x1
	v_add_f64_e32 v[11:12], v[72:73], v[86:87]
	v_add_f64_e64 v[13:14], v[88:89], -v[92:93]
	v_fma_f64 v[206:207], v[9:10], s[8:9], v[7:8]
	v_fma_f64 v[210:211], v[9:10], s[2:3], v[7:8]
	v_add_f64_e32 v[7:8], v[88:89], v[92:93]
	v_add_f64_e32 v[9:10], v[74:75], v[88:89]
	v_fma_f64 v[5:6], v[5:6], -0.5, v[72:73]
	v_add_f64_e32 v[212:213], v[11:12], v[90:91]
	s_delay_alu instid0(VALU_DEP_4) | instskip(NEXT) | instid1(VALU_DEP_4)
	v_fma_f64 v[7:8], v[7:8], -0.5, v[74:75]
	v_add_f64_e32 v[214:215], v[9:10], v[92:93]
	v_add_f64_e64 v[9:10], v[86:87], -v[90:91]
	ds_load_b128 v[72:75], v254 offset:3264
	ds_load_b128 v[88:91], v254 offset:5712
	v_fma_f64 v[216:217], v[13:14], s[2:3], v[5:6]
	v_fma_f64 v[220:221], v[13:14], s[8:9], v[5:6]
	v_add_f64_e32 v[5:6], v[94:95], v[98:99]
	v_add_f64_e64 v[13:14], v[96:97], -v[100:101]
	s_wait_dscnt 0x1
	v_add_f64_e32 v[11:12], v[72:73], v[94:95]
	v_fma_f64 v[218:219], v[9:10], s[8:9], v[7:8]
	v_fma_f64 v[222:223], v[9:10], s[2:3], v[7:8]
	v_add_f64_e32 v[7:8], v[96:97], v[100:101]
	v_add_f64_e32 v[9:10], v[74:75], v[96:97]
	v_fma_f64 v[5:6], v[5:6], -0.5, v[72:73]
	v_add_f64_e32 v[224:225], v[11:12], v[98:99]
	s_delay_alu instid0(VALU_DEP_4) | instskip(NEXT) | instid1(VALU_DEP_4)
	v_fma_f64 v[7:8], v[7:8], -0.5, v[74:75]
	v_add_f64_e32 v[226:227], v[9:10], v[100:101]
	v_add_f64_e64 v[9:10], v[94:95], -v[98:99]
	ds_load_b128 v[72:75], v254 offset:4080
	v_fma_f64 v[228:229], v[13:14], s[2:3], v[5:6]
	v_fma_f64 v[232:233], v[13:14], s[8:9], v[5:6]
	v_add_f64_e32 v[5:6], v[102:103], v[106:107]
	v_add_f64_e64 v[13:14], v[104:105], -v[108:109]
	s_wait_dscnt 0x0
	v_add_f64_e32 v[11:12], v[72:73], v[102:103]
	v_fma_f64 v[230:231], v[9:10], s[8:9], v[7:8]
	v_fma_f64 v[234:235], v[9:10], s[2:3], v[7:8]
	v_add_f64_e32 v[7:8], v[104:105], v[108:109]
	v_add_f64_e32 v[9:10], v[74:75], v[104:105]
	v_fma_f64 v[5:6], v[5:6], -0.5, v[72:73]
	v_add_f64_e32 v[236:237], v[11:12], v[106:107]
	v_add_f64_e32 v[11:12], v[76:77], v[110:111]
	v_fma_f64 v[7:8], v[7:8], -0.5, v[74:75]
	v_add_f64_e32 v[238:239], v[9:10], v[108:109]
	v_add_f64_e64 v[9:10], v[102:103], -v[106:107]
	ds_load_b128 v[100:103], v254 offset:6528
	v_fma_f64 v[240:241], v[13:14], s[2:3], v[5:6]
	v_fma_f64 v[15:16], v[13:14], s[8:9], v[5:6]
	v_add_f64_e32 v[5:6], v[110:111], v[114:115]
	v_add_f64_e64 v[13:14], v[112:113], -v[116:117]
	v_add_f64_e32 v[19:20], v[11:12], v[114:115]
	v_add_f64_e32 v[11:12], v[88:89], v[118:119]
	v_fma_f64 v[242:243], v[9:10], s[8:9], v[7:8]
	v_fma_f64 v[17:18], v[9:10], s[2:3], v[7:8]
	v_add_f64_e32 v[7:8], v[112:113], v[116:117]
	v_add_f64_e32 v[9:10], v[78:79], v[112:113]
	v_fma_f64 v[5:6], v[5:6], -0.5, v[76:77]
	v_add_f64_e32 v[31:32], v[11:12], v[122:123]
	s_delay_alu instid0(VALU_DEP_4) | instskip(NEXT) | instid1(VALU_DEP_4)
	v_fma_f64 v[7:8], v[7:8], -0.5, v[78:79]
	v_add_f64_e32 v[21:22], v[9:10], v[116:117]
	v_add_f64_e64 v[9:10], v[110:111], -v[114:115]
	ds_load_b128 v[108:111], v254 offset:7344
	s_wait_dscnt 0x1
	v_add_f64_e32 v[11:12], v[100:101], v[126:127]
	v_fma_f64 v[23:24], v[13:14], s[2:3], v[5:6]
	v_fma_f64 v[27:28], v[13:14], s[8:9], v[5:6]
	v_add_f64_e32 v[5:6], v[118:119], v[122:123]
	v_add_f64_e64 v[13:14], v[120:121], -v[124:125]
	v_fma_f64 v[25:26], v[9:10], s[8:9], v[7:8]
	v_fma_f64 v[29:30], v[9:10], s[2:3], v[7:8]
	v_add_f64_e32 v[7:8], v[120:121], v[124:125]
	v_add_f64_e32 v[9:10], v[90:91], v[120:121]
	;; [unrolled: 1-line block ×3, first 2 shown]
	s_wait_dscnt 0x0
	v_add_f64_e32 v[11:12], v[108:109], v[134:135]
	v_fma_f64 v[5:6], v[5:6], -0.5, v[88:89]
	v_fma_f64 v[7:8], v[7:8], -0.5, v[90:91]
	v_add_f64_e32 v[33:34], v[9:10], v[124:125]
	v_add_f64_e64 v[9:10], v[118:119], -v[122:123]
	v_add_f64_e32 v[51:52], v[11:12], v[162:163]
	v_fma_f64 v[35:36], v[13:14], s[2:3], v[5:6]
	v_fma_f64 v[39:40], v[13:14], s[8:9], v[5:6]
	v_add_f64_e32 v[5:6], v[126:127], v[130:131]
	v_add_f64_e64 v[13:14], v[128:129], -v[132:133]
	v_fma_f64 v[37:38], v[9:10], s[8:9], v[7:8]
	v_fma_f64 v[41:42], v[9:10], s[2:3], v[7:8]
	v_add_f64_e32 v[7:8], v[128:129], v[132:133]
	v_add_f64_e32 v[9:10], v[102:103], v[128:129]
	v_fma_f64 v[5:6], v[5:6], -0.5, v[100:101]
	s_delay_alu instid0(VALU_DEP_3) | instskip(NEXT) | instid1(VALU_DEP_3)
	v_fma_f64 v[7:8], v[7:8], -0.5, v[102:103]
	v_add_f64_e32 v[45:46], v[9:10], v[132:133]
	v_add_f64_e64 v[9:10], v[126:127], -v[130:131]
	ds_load_b128 v[124:127], v254 offset:8160
	ds_store_b128 v254, v[140:143] offset:8976
	ds_store_b128 v254, v[136:139]
	ds_store_b128 v254, v[148:151] offset:816
	ds_store_b128 v254, v[144:147] offset:17952
	;; [unrolled: 1-line block ×15, first 2 shown]
	s_clause 0x1
	scratch_store_b128 off, v[15:18], off offset:1376
	scratch_store_b128 off, v[19:22], off offset:1392
	ds_store_b128 v254, v[15:18] offset:22032
	ds_store_b128 v254, v[27:30] offset:22848
	s_clause 0x1
	scratch_store_b128 off, v[23:26], off offset:1408
	scratch_store_b128 off, v[27:30], off offset:1424
	v_fma_f64 v[47:48], v[13:14], s[2:3], v[5:6]
	v_fma_f64 v[55:56], v[13:14], s[8:9], v[5:6]
	v_add_f64_e32 v[5:6], v[134:135], v[162:163]
	v_add_f64_e64 v[13:14], v[160:161], -v[164:165]
	ds_store_b128 v254, v[19:22] offset:4896
	ds_store_b128 v254, v[31:34] offset:5712
	s_clause 0x2
	scratch_store_b128 off, v[31:34], off offset:1440
	scratch_store_b128 off, v[35:38], off offset:1456
	;; [unrolled: 1-line block ×3, first 2 shown]
	s_wait_dscnt 0x15
	v_add_f64_e32 v[11:12], v[124:125], v[166:167]
	scratch_store_b128 off, v[43:46], off offset:1488 ; 16-byte Folded Spill
	v_fma_f64 v[49:50], v[9:10], s[8:9], v[7:8]
	v_fma_f64 v[57:58], v[9:10], s[2:3], v[7:8]
	v_add_f64_e32 v[7:8], v[160:161], v[164:165]
	v_add_f64_e32 v[9:10], v[110:111], v[160:161]
	ds_store_b128 v254, v[39:42] offset:23664
	ds_store_b128 v254, v[35:38] offset:14688
	v_fma_f64 v[5:6], v[5:6], -0.5, v[108:109]
	v_add_f64_e32 v[11:12], v[11:12], v[3:4]
	ds_store_b128 v254, v[47:50] offset:15504
	ds_store_b128 v254, v[55:58] offset:24480
	v_fma_f64 v[7:8], v[7:8], -0.5, v[110:111]
	v_add_f64_e32 v[53:54], v[9:10], v[164:165]
	v_add_f64_e64 v[9:10], v[134:135], -v[162:163]
	scratch_store_b128 off, v[47:50], off offset:1504 ; 16-byte Folded Spill
	ds_store_b128 v254, v[43:46] offset:6528
	v_fma_f64 v[59:60], v[13:14], s[2:3], v[5:6]
	v_fma_f64 v[63:64], v[13:14], s[8:9], v[5:6]
	v_add_f64_e32 v[5:6], v[166:167], v[3:4]
	v_add_f64_e64 v[3:4], v[166:167], -v[3:4]
	ds_store_b128 v254, v[51:54] offset:7344
	v_fma_f64 v[61:62], v[9:10], s[8:9], v[7:8]
	v_fma_f64 v[65:66], v[9:10], s[2:3], v[7:8]
	v_add_f64_e32 v[7:8], v[1:2], v[168:169]
	v_add_f64_e32 v[9:10], v[126:127], v[1:2]
	v_add_f64_e64 v[1:2], v[1:2], -v[168:169]
	s_clause 0x1
	scratch_store_b128 off, v[51:54], off offset:1520
	scratch_store_b128 off, v[55:58], off offset:1536
	v_fma_f64 v[5:6], v[5:6], -0.5, v[124:125]
	scratch_store_b128 off, v[59:62], off offset:1552 ; 16-byte Folded Spill
	v_fma_f64 v[7:8], v[7:8], -0.5, v[126:127]
	v_add_f64_e32 v[13:14], v[9:10], v[168:169]
	ds_store_b128 v254, v[23:26] offset:13872
	scratch_store_b128 off, v[63:66], off offset:1568 ; 16-byte Folded Spill
	v_fma_f64 v[67:68], v[1:2], s[2:3], v[5:6]
	v_fma_f64 v[1:2], v[1:2], s[8:9], v[5:6]
	;; [unrolled: 1-line block ×3, first 2 shown]
	scratch_store_b128 off, v[11:14], off offset:1584 ; 16-byte Folded Spill
	v_fma_f64 v[3:4], v[3:4], s[2:3], v[7:8]
	ds_store_b128 v254, v[63:66] offset:25296
	ds_store_b128 v254, v[11:14] offset:8160
	;; [unrolled: 1-line block ×4, first 2 shown]
	s_clause 0x1
	scratch_store_b128 off, v[67:70], off offset:1600
	scratch_store_b128 off, v[1:4], off offset:1616
	ds_store_b128 v254, v[1:4] offset:26112
	global_wb scope:SCOPE_SE
	s_wait_storecnt_dscnt 0x0
	s_barrier_signal -1
	s_barrier_wait -1
	global_inv scope:SCOPE_SE
	scratch_load_b64 v[1:2], off, off offset:4 ; 8-byte Folded Reload
	ds_load_b128 v[142:145], v254
	ds_load_b128 v[146:149], v254 offset:1584
	ds_load_b128 v[200:203], v254 offset:6336
	;; [unrolled: 1-line block ×14, first 2 shown]
	s_wait_loadcnt 0x0
	global_load_b128 v[138:141], v[1:2], off offset:26928
	s_wait_loadcnt_dscnt 0xe
	v_mul_f64_e32 v[1:2], v[144:145], v[140:141]
	v_mul_f64_e32 v[3:4], v[142:143], v[140:141]
	s_delay_alu instid0(VALU_DEP_2)
	v_fma_f64 v[136:137], v[142:143], v[138:139], -v[1:2]
	v_lshlrev_b32_e32 v1, 4, v246
	ds_load_b128 v[246:249], v254 offset:23760
	v_fma_f64 v[138:139], v[144:145], v[138:139], v[3:4]
	global_load_b128 v[142:145], v1, s[0:1] offset:1584
	s_wait_loadcnt_dscnt 0xe
	v_mul_f64_e32 v[2:3], v[148:149], v[144:145]
	v_mul_f64_e32 v[4:5], v[146:147], v[144:145]
	s_delay_alu instid0(VALU_DEP_2)
	v_fma_f64 v[140:141], v[146:147], v[142:143], -v[2:3]
	global_load_b128 v[144:147], v1, s[0:1] offset:3168
	v_fma_f64 v[142:143], v[148:149], v[142:143], v[4:5]
	ds_load_b128 v[148:151], v254 offset:3168
	s_wait_loadcnt_dscnt 0x0
	v_mul_f64_e32 v[2:3], v[150:151], v[146:147]
	v_mul_f64_e32 v[4:5], v[148:149], v[146:147]
	s_delay_alu instid0(VALU_DEP_2) | instskip(NEXT) | instid1(VALU_DEP_2)
	v_fma_f64 v[146:147], v[148:149], v[144:145], -v[2:3]
	v_fma_f64 v[148:149], v[150:151], v[144:145], v[4:5]
	global_load_b128 v[150:153], v1, s[0:1] offset:4752
	s_wait_loadcnt 0x0
	v_mul_f64_e32 v[2:3], v[156:157], v[152:153]
	v_mul_f64_e32 v[4:5], v[154:155], v[152:153]
	s_delay_alu instid0(VALU_DEP_2) | instskip(NEXT) | instid1(VALU_DEP_2)
	v_fma_f64 v[152:153], v[154:155], v[150:151], -v[2:3]
	v_fma_f64 v[154:155], v[156:157], v[150:151], v[4:5]
	global_load_b128 v[156:159], v1, s[0:1] offset:6336
	s_wait_loadcnt 0x0
	;; [unrolled: 7-line block ×14, first 2 shown]
	v_mul_f64_e32 v[2:3], v[252:253], v[158:159]
	v_mul_f64_e32 v[4:5], v[250:251], v[158:159]
	s_delay_alu instid0(VALU_DEP_2) | instskip(NEXT) | instid1(VALU_DEP_2)
	v_fma_f64 v[250:251], v[250:251], v[156:157], -v[2:3]
	v_fma_f64 v[252:253], v[252:253], v[156:157], v[4:5]
	ds_store_b128 v254, v[136:139]
	ds_store_b128 v254, v[140:143] offset:1584
	ds_store_b128 v254, v[146:149] offset:3168
	;; [unrolled: 1-line block ×16, first 2 shown]
	s_and_saveexec_b32 s2, vcc_lo
	s_cbranch_execz .LBB0_9
; %bb.8:
	s_wait_alu 0xfffe
	v_add_co_u32 v1, s0, s0, v1
	s_wait_alu 0xf1ff
	v_add_co_ci_u32_e64 v2, null, s1, 0, s0
	s_clause 0x10
	global_load_b128 v[136:139], v[1:2], off offset:816
	global_load_b128 v[140:143], v[1:2], off offset:2400
	;; [unrolled: 1-line block ×17, first 2 shown]
	ds_load_b128 v[246:249], v254 offset:816
	ds_load_b128 v[250:253], v254 offset:2400
	;; [unrolled: 1-line block ×5, first 2 shown]
	s_wait_loadcnt_dscnt 0x1004
	v_mul_f64_e32 v[13:14], v[248:249], v[138:139]
	v_mul_f64_e32 v[15:16], v[246:247], v[138:139]
	s_wait_loadcnt_dscnt 0xf03
	v_mul_f64_e32 v[17:18], v[252:253], v[142:143]
	v_mul_f64_e32 v[142:143], v[250:251], v[142:143]
	;; [unrolled: 3-line block ×4, first 2 shown]
	v_fma_f64 v[246:247], v[246:247], v[136:137], -v[13:14]
	v_fma_f64 v[248:249], v[248:249], v[136:137], v[15:16]
	ds_load_b128 v[136:139], v254 offset:8736
	s_wait_loadcnt_dscnt 0xc01
	v_mul_f64_e32 v[164:165], v[11:12], v[154:155]
	v_mul_f64_e32 v[154:155], v[9:10], v[154:155]
	v_fma_f64 v[250:251], v[250:251], v[140:141], -v[17:18]
	v_fma_f64 v[252:253], v[252:253], v[140:141], v[142:143]
	ds_load_b128 v[140:143], v254 offset:10320
	ds_load_b128 v[13:16], v254 offset:11904
	v_fma_f64 v[1:2], v[1:2], v[144:145], -v[160:161]
	v_fma_f64 v[3:4], v[3:4], v[144:145], v[146:147]
	v_fma_f64 v[5:6], v[5:6], v[148:149], -v[162:163]
	ds_load_b128 v[144:147], v254 offset:13488
	v_fma_f64 v[7:8], v[7:8], v[148:149], v[150:151]
	s_wait_loadcnt_dscnt 0xb03
	v_mul_f64_e32 v[17:18], v[138:139], v[158:159]
	v_mul_f64_e32 v[158:159], v[136:137], v[158:159]
	s_wait_loadcnt_dscnt 0xa02
	v_mul_f64_e32 v[160:161], v[142:143], v[202:203]
	v_mul_f64_e32 v[166:167], v[140:141], v[202:203]
	;; [unrolled: 3-line block ×3, first 2 shown]
	v_fma_f64 v[9:10], v[9:10], v[152:153], -v[164:165]
	v_fma_f64 v[11:12], v[11:12], v[152:153], v[154:155]
	ds_load_b128 v[148:151], v254 offset:15072
	ds_load_b128 v[152:155], v254 offset:16656
	s_wait_loadcnt_dscnt 0x802
	v_mul_f64_e32 v[164:165], v[146:147], v[210:211]
	v_fma_f64 v[136:137], v[136:137], v[156:157], -v[17:18]
	v_mul_f64_e32 v[17:18], v[144:145], v[210:211]
	v_fma_f64 v[138:139], v[138:139], v[156:157], v[158:159]
	s_wait_loadcnt_dscnt 0x701
	v_mul_f64_e32 v[170:171], v[150:151], v[214:215]
	v_mul_f64_e32 v[172:173], v[148:149], v[214:215]
	v_fma_f64 v[140:141], v[140:141], v[200:201], -v[160:161]
	v_fma_f64 v[142:143], v[142:143], v[200:201], v[166:167]
	ds_load_b128 v[156:159], v254 offset:18240
	ds_load_b128 v[200:203], v254 offset:19824
	s_wait_loadcnt_dscnt 0x602
	v_mul_f64_e32 v[160:161], v[154:155], v[218:219]
	v_fma_f64 v[13:14], v[13:14], v[204:205], -v[162:163]
	v_mul_f64_e32 v[162:163], v[152:153], v[218:219]
	v_fma_f64 v[15:16], v[15:16], v[204:205], v[168:169]
	ds_load_b128 v[204:207], v254 offset:21408
	v_fma_f64 v[144:145], v[144:145], v[208:209], -v[164:165]
	s_wait_loadcnt_dscnt 0x502
	v_mul_f64_e32 v[166:167], v[158:159], v[222:223]
	v_mul_f64_e32 v[168:169], v[156:157], v[222:223]
	s_wait_loadcnt_dscnt 0x401
	v_mul_f64_e32 v[174:175], v[202:203], v[226:227]
	v_fma_f64 v[146:147], v[146:147], v[208:209], v[17:18]
	v_mul_f64_e32 v[17:18], v[200:201], v[226:227]
	v_fma_f64 v[148:149], v[148:149], v[212:213], -v[170:171]
	v_fma_f64 v[150:151], v[150:151], v[212:213], v[172:173]
	ds_load_b128 v[208:211], v254 offset:22992
	ds_load_b128 v[212:215], v254 offset:24576
	v_fma_f64 v[152:153], v[152:153], v[216:217], -v[160:161]
	s_wait_loadcnt_dscnt 0x302
	v_mul_f64_e32 v[160:161], v[206:207], v[230:231]
	v_fma_f64 v[154:155], v[154:155], v[216:217], v[162:163]
	ds_load_b128 v[216:219], v254 offset:26160
	v_mul_f64_e32 v[162:163], v[204:205], v[230:231]
	s_wait_loadcnt_dscnt 0x202
	v_mul_f64_e32 v[164:165], v[210:211], v[234:235]
	s_wait_loadcnt_dscnt 0x101
	v_mul_f64_e32 v[170:171], v[212:213], v[238:239]
	v_fma_f64 v[156:157], v[156:157], v[220:221], -v[166:167]
	v_mul_f64_e32 v[166:167], v[208:209], v[234:235]
	v_fma_f64 v[158:159], v[158:159], v[220:221], v[168:169]
	v_mul_f64_e32 v[168:169], v[214:215], v[238:239]
	v_fma_f64 v[200:201], v[200:201], v[224:225], -v[174:175]
	s_wait_loadcnt_dscnt 0x0
	v_mul_f64_e32 v[172:173], v[218:219], v[242:243]
	v_fma_f64 v[202:203], v[202:203], v[224:225], v[17:18]
	v_mul_f64_e32 v[17:18], v[216:217], v[242:243]
	v_fma_f64 v[204:205], v[204:205], v[228:229], -v[160:161]
	v_fma_f64 v[206:207], v[206:207], v[228:229], v[162:163]
	v_fma_f64 v[208:209], v[208:209], v[232:233], -v[164:165]
	v_fma_f64 v[214:215], v[214:215], v[236:237], v[170:171]
	v_fma_f64 v[210:211], v[210:211], v[232:233], v[166:167]
	v_fma_f64 v[212:213], v[212:213], v[236:237], -v[168:169]
	v_fma_f64 v[216:217], v[216:217], v[240:241], -v[172:173]
	v_fma_f64 v[218:219], v[218:219], v[240:241], v[17:18]
	ds_store_b128 v254, v[246:249] offset:816
	ds_store_b128 v254, v[250:253] offset:2400
	ds_store_b128 v254, v[1:4] offset:3984
	ds_store_b128 v254, v[5:8] offset:5568
	ds_store_b128 v254, v[9:12] offset:7152
	ds_store_b128 v254, v[136:139] offset:8736
	ds_store_b128 v254, v[140:143] offset:10320
	ds_store_b128 v254, v[13:16] offset:11904
	ds_store_b128 v254, v[144:147] offset:13488
	ds_store_b128 v254, v[148:151] offset:15072
	ds_store_b128 v254, v[152:155] offset:16656
	ds_store_b128 v254, v[156:159] offset:18240
	ds_store_b128 v254, v[200:203] offset:19824
	ds_store_b128 v254, v[204:207] offset:21408
	ds_store_b128 v254, v[208:211] offset:22992
	ds_store_b128 v254, v[212:215] offset:24576
	ds_store_b128 v254, v[216:219] offset:26160
.LBB0_9:
	s_wait_alu 0xfffe
	s_or_b32 exec_lo, exec_lo, s2
	global_wb scope:SCOPE_SE
	s_wait_dscnt 0x0
	s_barrier_signal -1
	s_barrier_wait -1
	global_inv scope:SCOPE_SE
	ds_load_b128 v[156:159], v254
	ds_load_b128 v[240:243], v254 offset:1584
	ds_load_b128 v[19:22], v254 offset:3168
	;; [unrolled: 1-line block ×16, first 2 shown]
	s_and_saveexec_b32 s0, vcc_lo
	s_cbranch_execz .LBB0_11
; %bb.10:
	ds_load_b128 v[1:4], v254 offset:816
	s_wait_dscnt 0x0
	scratch_store_b128 off, v[1:4], off offset:1376 ; 16-byte Folded Spill
	ds_load_b128 v[1:4], v254 offset:2400
	s_wait_dscnt 0x0
	scratch_store_b128 off, v[1:4], off offset:1392 ; 16-byte Folded Spill
	;; [unrolled: 3-line block ×17, first 2 shown]
.LBB0_11:
	s_wait_alu 0xfffe
	s_or_b32 exec_lo, exec_lo, s0
	s_wait_dscnt 0xf
	v_add_f64_e32 v[1:2], v[156:157], v[240:241]
	v_add_f64_e32 v[3:4], v[158:159], v[242:243]
	s_wait_dscnt 0x0
	v_dual_mov_b32 v26, v8 :: v_dual_mov_b32 v25, v7
	v_dual_mov_b32 v24, v6 :: v_dual_mov_b32 v23, v5
	s_mov_b32 s26, 0x5d8e7cdc
	s_mov_b32 s38, 0x2a9d6da3
	s_delay_alu instid0(VALU_DEP_2)
	v_add_f64_e64 v[5:6], v[242:243], -v[25:26]
	s_mov_b32 s30, 0x7c9e640b
	s_mov_b32 s18, 0xeb564b22
	;; [unrolled: 1-line block ×14, first 2 shown]
	s_clause 0x1
	scratch_store_b128 off, v[23:26], off offset:1632
	scratch_store_b128 off, v[9:12], off offset:1648
	v_add_f64_e32 v[7:8], v[240:241], v[23:24]
	s_mov_b32 s0, 0x370991
	s_mov_b32 s2, 0x75d4884
	;; [unrolled: 1-line block ×12, first 2 shown]
	v_add_f64_e32 v[1:2], v[1:2], v[19:20]
	v_add_f64_e32 v[3:4], v[3:4], v[21:22]
	s_mov_b32 s29, 0xbfd183b1
	s_mov_b32 s25, 0xbfe348c8
	;; [unrolled: 1-line block ×4, first 2 shown]
	v_add_f64_e64 v[252:253], v[240:241], -v[23:24]
	s_mov_b32 s41, 0x3fd71e95
	s_wait_alu 0xfffe
	v_mul_f64_e32 v[17:18], s[18:19], v[5:6]
	v_mul_f64_e32 v[160:161], s[36:37], v[5:6]
	;; [unrolled: 1-line block ×4, first 2 shown]
	s_mov_b32 s43, 0x3fe58eea
	s_mov_b32 s45, 0x3feca52d
	;; [unrolled: 1-line block ×14, first 2 shown]
	v_add_f64_e32 v[248:249], v[232:233], v[208:209]
	v_add_f64_e32 v[246:247], v[234:235], v[210:211]
	v_add_f64_e64 v[250:251], v[234:235], -v[210:211]
	v_add_f64_e32 v[240:241], v[224:225], v[236:237]
	v_add_f64_e32 v[244:245], v[21:22], v[202:203]
	;; [unrolled: 1-line block ×4, first 2 shown]
	v_fma_f64 v[174:175], v[7:8], s[16:17], v[17:18]
	v_fma_f64 v[17:18], v[7:8], s[16:17], -v[17:18]
	v_fma_f64 v[176:177], v[7:8], s[28:29], v[160:161]
	v_fma_f64 v[160:161], v[7:8], s[28:29], -v[160:161]
	;; [unrolled: 2-line block ×4, first 2 shown]
	s_wait_alu 0xfffe
	v_mul_f64_e32 v[140:141], s[46:47], v[250:251]
	v_mul_f64_e32 v[134:135], s[40:41], v[250:251]
	;; [unrolled: 1-line block ×10, first 2 shown]
	v_add_f64_e32 v[1:2], v[1:2], v[232:233]
	v_add_f64_e32 v[3:4], v[3:4], v[234:235]
	;; [unrolled: 1-line block ×3, first 2 shown]
	v_mul_f64_e32 v[130:131], s[18:19], v[250:251]
	v_mul_f64_e32 v[132:133], s[48:49], v[250:251]
	;; [unrolled: 1-line block ×4, first 2 shown]
	v_add_f64_e32 v[174:175], v[156:157], v[174:175]
	v_add_f64_e32 v[17:18], v[156:157], v[17:18]
	;; [unrolled: 1-line block ×8, first 2 shown]
	v_fma_f64 v[71:72], v[248:249], s[0:1], v[134:135]
	v_fma_f64 v[73:74], v[248:249], s[0:1], -v[134:135]
	v_add_f64_e32 v[1:2], v[1:2], v[224:225]
	v_add_f64_e32 v[3:4], v[3:4], v[226:227]
	v_fma_f64 v[134:135], v[248:249], s[8:9], v[136:137]
	v_fma_f64 v[136:137], v[248:249], s[8:9], -v[136:137]
	s_delay_alu instid0(VALU_DEP_4) | instskip(NEXT) | instid1(VALU_DEP_4)
	v_add_f64_e32 v[1:2], v[1:2], v[220:221]
	v_add_f64_e32 v[3:4], v[3:4], v[222:223]
	s_delay_alu instid0(VALU_DEP_2) | instskip(NEXT) | instid1(VALU_DEP_2)
	v_add_f64_e32 v[1:2], v[1:2], v[212:213]
	v_add_f64_e32 v[3:4], v[3:4], v[214:215]
	s_delay_alu instid0(VALU_DEP_2) | instskip(NEXT) | instid1(VALU_DEP_2)
	v_add_f64_e32 v[1:2], v[1:2], v[9:10]
	v_add_f64_e32 v[3:4], v[3:4], v[11:12]
	;; [unrolled: 1-line block ×3, first 2 shown]
	v_mul_f64_e32 v[11:12], s[26:27], v[5:6]
	v_add_f64_e64 v[242:243], v[232:233], -v[208:209]
	v_add_f64_e64 v[232:233], v[224:225], -v[236:237]
	v_add_f64_e32 v[224:225], v[222:223], v[230:231]
	v_add_f64_e64 v[222:223], v[222:223], -v[230:231]
	v_add_f64_e32 v[1:2], v[1:2], v[13:14]
	v_add_f64_e32 v[3:4], v[3:4], v[15:16]
	v_mul_f64_e32 v[166:167], s[0:1], v[9:10]
	v_fma_f64 v[168:169], v[7:8], s[0:1], v[11:12]
	v_fma_f64 v[11:12], v[7:8], s[0:1], -v[11:12]
	v_mul_f64_e32 v[184:185], s[8:9], v[9:10]
	v_mul_f64_e32 v[186:187], s[16:17], v[9:10]
	;; [unrolled: 1-line block ×5, first 2 shown]
	v_add_f64_e32 v[1:2], v[1:2], v[216:217]
	v_add_f64_e32 v[3:4], v[3:4], v[218:219]
	v_fma_f64 v[194:195], v[252:253], s[40:41], v[166:167]
	v_fma_f64 v[166:167], v[252:253], s[26:27], v[166:167]
	v_add_f64_e32 v[168:169], v[156:157], v[168:169]
	v_fma_f64 v[198:199], v[252:253], s[44:45], v[184:185]
	v_fma_f64 v[184:185], v[252:253], s[30:31], v[184:185]
	v_add_f64_e32 v[11:12], v[156:157], v[11:12]
	v_add_f64_e32 v[1:2], v[1:2], v[228:229]
	;; [unrolled: 1-line block ×3, first 2 shown]
	v_fma_f64 v[230:231], v[252:253], s[50:51], v[192:193]
	v_fma_f64 v[192:193], v[252:253], s[12:13], v[192:193]
	v_add_f64_e32 v[194:195], v[158:159], v[194:195]
	v_add_f64_e32 v[166:167], v[158:159], v[166:167]
	;; [unrolled: 1-line block ×6, first 2 shown]
	v_add_f64_e64 v[236:237], v[226:227], -v[238:239]
	v_add_f64_e32 v[226:227], v[220:221], v[228:229]
	v_add_f64_e64 v[220:221], v[220:221], -v[228:229]
	v_add_f64_e32 v[228:229], v[214:215], v[218:219]
	;; [unrolled: 2-line block ×3, first 2 shown]
	v_add_f64_e64 v[212:213], v[212:213], -v[216:217]
	v_fma_f64 v[216:217], v[252:253], s[46:47], v[190:191]
	v_fma_f64 v[190:191], v[252:253], s[14:15], v[190:191]
	v_add_f64_e32 v[230:231], v[158:159], v[230:231]
	v_add_f64_e32 v[192:193], v[158:159], v[192:193]
	;; [unrolled: 1-line block ×4, first 2 shown]
	v_fma_f64 v[208:209], v[252:253], s[52:53], v[186:187]
	v_fma_f64 v[186:187], v[252:253], s[18:19], v[186:187]
	;; [unrolled: 1-line block ×4, first 2 shown]
	v_add_f64_e32 v[216:217], v[158:159], v[216:217]
	v_add_f64_e32 v[190:191], v[158:159], v[190:191]
	;; [unrolled: 1-line block ×9, first 2 shown]
	scratch_store_b128 off, v[13:16], off offset:1664 ; 16-byte Folded Spill
	v_mul_f64_e32 v[13:14], s[38:39], v[5:6]
	v_mul_f64_e32 v[15:16], s[30:31], v[5:6]
	;; [unrolled: 1-line block ×3, first 2 shown]
	scratch_store_b64 off, v[1:2], off offset:1680 ; 8-byte Folded Spill
	v_add_f64_e32 v[1:2], v[3:4], v[202:203]
	v_fma_f64 v[170:171], v[7:8], s[2:3], v[13:14]
	v_fma_f64 v[13:14], v[7:8], s[2:3], -v[13:14]
	v_fma_f64 v[172:173], v[7:8], s[8:9], v[15:16]
	v_fma_f64 v[15:16], v[7:8], s[8:9], -v[15:16]
	;; [unrolled: 2-line block ×3, first 2 shown]
	v_mul_f64_e32 v[7:8], s[2:3], v[9:10]
	v_mul_f64_e32 v[9:10], s[20:21], v[9:10]
	scratch_store_b64 off, v[1:2], off offset:1688 ; 8-byte Folded Spill
	v_add_f64_e32 v[170:171], v[156:157], v[170:171]
	v_add_f64_e32 v[13:14], v[156:157], v[13:14]
	;; [unrolled: 1-line block ×6, first 2 shown]
	v_fma_f64 v[196:197], v[252:253], s[42:43], v[7:8]
	v_fma_f64 v[7:8], v[252:253], s[38:39], v[7:8]
	;; [unrolled: 1-line block ×4, first 2 shown]
	v_add_f64_e32 v[156:157], v[152:153], v[204:205]
	v_add_f64_e64 v[152:153], v[152:153], -v[204:205]
	v_add_f64_e64 v[204:205], v[21:22], -v[202:203]
	;; [unrolled: 1-line block ×3, first 2 shown]
	v_add_f64_e32 v[196:197], v[158:159], v[196:197]
	v_add_f64_e32 v[148:149], v[158:159], v[7:8]
	v_add_f64_e32 v[238:239], v[158:159], v[238:239]
	v_add_f64_e32 v[5:6], v[158:159], v[9:10]
	v_add_f64_e32 v[158:159], v[154:155], v[206:207]
	v_add_f64_e64 v[154:155], v[154:155], -v[206:207]
	v_add_f64_e32 v[206:207], v[19:20], v[200:201]
	v_mul_f64_e32 v[25:26], s[40:41], v[204:205]
	v_mul_f64_e32 v[1:2], s[38:39], v[204:205]
	;; [unrolled: 1-line block ×8, first 2 shown]
	v_fma_f64 v[59:60], v[252:253], s[54:55], v[45:46]
	v_fma_f64 v[45:46], v[252:253], s[34:35], v[45:46]
	;; [unrolled: 1-line block ×12, first 2 shown]
	v_fma_f64 v[140:141], v[248:249], s[24:25], -v[140:141]
	v_fma_f64 v[142:143], v[248:249], s[2:3], -v[142:143]
	scratch_store_b64 off, v[5:6], off offset:1696 ; 8-byte Folded Spill
	v_mul_f64_e32 v[112:113], s[16:17], v[158:159]
	v_mul_f64_e32 v[69:70], s[30:31], v[154:155]
	;; [unrolled: 1-line block ×3, first 2 shown]
	v_fma_f64 v[39:40], v[206:207], s[0:1], v[25:26]
	v_fma_f64 v[25:26], v[206:207], s[0:1], -v[25:26]
	v_fma_f64 v[27:28], v[206:207], s[16:17], v[3:4]
	v_fma_f64 v[3:4], v[206:207], s[16:17], -v[3:4]
	;; [unrolled: 2-line block ×7, first 2 shown]
	v_mul_f64_e32 v[78:79], s[48:49], v[154:155]
	v_mul_f64_e32 v[80:81], s[42:43], v[154:155]
	;; [unrolled: 1-line block ×8, first 2 shown]
	v_add_f64_e32 v[47:48], v[47:48], v[188:189]
	v_fma_f64 v[204:205], v[206:207], s[2:3], v[1:2]
	v_fma_f64 v[1:2], v[206:207], s[2:3], -v[1:2]
	v_mul_f64_e32 v[206:207], s[16:17], v[244:245]
	v_fma_f64 v[244:245], v[252:253], s[42:43], v[41:42]
	v_fma_f64 v[41:42], v[252:253], s[38:39], v[41:42]
	v_mul_f64_e32 v[104:105], s[20:21], v[158:159]
	v_mul_f64_e32 v[108:109], s[2:3], v[158:159]
	;; [unrolled: 1-line block ×3, first 2 shown]
	v_fma_f64 v[5:6], v[248:249], s[22:23], v[138:139]
	v_add_f64_e32 v[67:68], v[67:68], v[238:239]
	v_add_f64_e32 v[49:50], v[49:50], v[190:191]
	v_fma_f64 v[138:139], v[248:249], s[22:23], -v[138:139]
	v_fma_f64 v[126:127], v[152:153], s[52:53], v[112:113]
	v_fma_f64 v[112:113], v[152:153], s[18:19], v[112:113]
	v_add_f64_e32 v[51:52], v[51:52], v[192:193]
	v_add_f64_e32 v[39:40], v[39:40], v[182:183]
	;; [unrolled: 1-line block ×3, first 2 shown]
	scratch_load_b64 v[150:151], off, off offset:1696 th:TH_LOAD_LU ; 8-byte Folded Reload
	v_add_f64_e32 v[27:28], v[27:28], v[170:171]
	v_add_f64_e32 v[3:4], v[3:4], v[13:14]
	v_mul_f64_e32 v[170:171], s[24:25], v[246:247]
	v_add_f64_e32 v[31:32], v[31:32], v[174:175]
	v_add_f64_e32 v[17:18], v[33:34], v[17:18]
	v_add_f64_e32 v[33:34], v[45:46], v[186:187]
	v_add_f64_e32 v[45:46], v[202:203], v[176:177]
	v_add_f64_e32 v[35:36], v[35:36], v[178:179]
	v_add_f64_e32 v[21:22], v[21:22], v[162:163]
	v_add_f64_e32 v[37:38], v[37:38], v[180:181]
	v_mul_f64_e32 v[162:163], s[0:1], v[246:247]
	v_fma_f64 v[92:93], v[156:157], s[28:29], v[78:79]
	v_fma_f64 v[78:79], v[156:157], s[28:29], -v[78:79]
	v_fma_f64 v[94:95], v[156:157], s[2:3], v[80:81]
	v_fma_f64 v[80:81], v[156:157], s[2:3], -v[80:81]
	;; [unrolled: 2-line block ×5, first 2 shown]
	v_fma_f64 v[124:125], v[152:153], s[40:41], v[110:111]
	v_fma_f64 v[55:56], v[252:253], s[52:53], v[206:207]
	;; [unrolled: 1-line block ×5, first 2 shown]
	v_mul_f64_e32 v[252:253], s[14:15], v[154:155]
	v_fma_f64 v[154:155], v[156:157], s[8:9], v[69:70]
	v_fma_f64 v[69:70], v[156:157], s[8:9], -v[69:70]
	v_add_f64_e32 v[1:2], v[1:2], v[11:12]
	v_add_f64_e32 v[11:12], v[41:42], v[166:167]
	v_mul_f64_e32 v[166:167], s[22:23], v[246:247]
	v_fma_f64 v[120:121], v[152:153], s[36:37], v[106:107]
	v_fma_f64 v[106:107], v[152:153], s[48:49], v[106:107]
	v_add_f64_e32 v[168:169], v[204:205], v[168:169]
	v_add_f64_e32 v[194:195], v[244:245], v[194:195]
	v_fma_f64 v[122:123], v[152:153], s[38:39], v[108:109]
	v_fma_f64 v[108:109], v[152:153], s[42:43], v[108:109]
	;; [unrolled: 1-line block ×6, first 2 shown]
	v_add_f64_e32 v[29:30], v[29:30], v[172:173]
	v_add_f64_e32 v[23:24], v[23:24], v[164:165]
	v_mul_f64_e32 v[172:173], s[2:3], v[246:247]
	v_add_f64_e32 v[15:16], v[200:201], v[15:16]
	v_add_f64_e32 v[19:20], v[19:20], v[160:161]
	v_mul_f64_e32 v[160:161], s[28:29], v[246:247]
	v_fma_f64 v[180:181], v[242:243], s[26:27], v[162:163]
	v_add_f64_e32 v[31:32], v[92:93], v[31:32]
	v_fma_f64 v[162:163], v[242:243], s[40:41], v[162:163]
	v_mul_f64_e32 v[164:165], s[8:9], v[246:247]
	v_add_f64_e32 v[17:18], v[78:79], v[17:18]
	v_add_f64_e32 v[35:36], v[96:97], v[35:36]
	;; [unrolled: 1-line block ×7, first 2 shown]
	v_fma_f64 v[170:171], v[242:243], s[46:47], v[170:171]
	v_add_f64_e32 v[41:42], v[55:56], v[196:197]
	v_add_f64_e32 v[13:14], v[57:58], v[148:149]
	;; [unrolled: 1-line block ×4, first 2 shown]
	v_fma_f64 v[88:89], v[156:157], s[24:25], v[252:253]
	v_fma_f64 v[90:91], v[156:157], s[24:25], -v[252:253]
	v_fma_f64 v[252:253], v[156:157], s[20:21], v[76:77]
	v_fma_f64 v[76:77], v[156:157], s[20:21], -v[76:77]
	v_mul_f64_e32 v[156:157], s[24:25], v[158:159]
	v_add_f64_e32 v[61:62], v[63:64], v[216:217]
	v_add_f64_e32 v[63:64], v[65:66], v[230:231]
	v_mul_f64_e32 v[148:149], s[20:21], v[246:247]
	v_fma_f64 v[158:159], v[152:153], s[44:45], v[102:103]
	v_mul_f64_e32 v[65:66], s[16:17], v[246:247]
	v_fma_f64 v[186:187], v[242:243], s[50:51], v[166:167]
	v_fma_f64 v[102:103], v[152:153], s[30:31], v[102:103]
	v_add_f64_e32 v[1:2], v[69:70], v[1:2]
	v_add_f64_e32 v[33:34], v[106:107], v[33:34]
	v_mul_f64_e32 v[69:70], s[36:37], v[236:237]
	v_add_f64_e32 v[67:68], v[128:129], v[67:68]
	v_add_f64_e32 v[43:44], v[43:44], v[184:185]
	;; [unrolled: 1-line block ×3, first 2 shown]
	v_fma_f64 v[190:191], v[242:243], s[38:39], v[172:173]
	v_add_f64_e32 v[47:48], v[108:109], v[47:48]
	v_add_f64_e32 v[19:20], v[80:81], v[19:20]
	v_mul_f64_e32 v[79:80], s[30:31], v[236:237]
	v_fma_f64 v[178:179], v[242:243], s[36:37], v[160:161]
	v_add_f64_e32 v[31:32], v[71:72], v[31:32]
	v_mul_f64_e32 v[71:72], s[8:9], v[234:235]
	v_fma_f64 v[160:161], v[242:243], s[48:49], v[160:161]
	v_fma_f64 v[184:185], v[242:243], s[44:45], v[164:165]
	v_add_f64_e32 v[5:6], v[5:6], v[35:36]
	v_fma_f64 v[164:165], v[242:243], s[30:31], v[164:165]
	v_add_f64_e32 v[7:8], v[7:8], v[37:38]
	v_add_f64_e32 v[17:18], v[73:74], v[17:18]
	;; [unrolled: 1-line block ×3, first 2 shown]
	v_mul_f64_e32 v[73:74], s[20:21], v[234:235]
	v_add_f64_e32 v[55:56], v[206:207], v[198:199]
	v_mul_f64_e32 v[81:82], s[34:35], v[236:237]
	v_mul_f64_e32 v[83:84], s[52:53], v[236:237]
	v_add_f64_e32 v[57:58], v[120:121], v[57:58]
	v_add_f64_e32 v[59:60], v[122:123], v[59:60]
	;; [unrolled: 1-line block ×6, first 2 shown]
	v_fma_f64 v[118:119], v[152:153], s[14:15], v[156:157]
	v_add_f64_e32 v[61:62], v[124:125], v[61:62]
	v_add_f64_e32 v[63:64], v[126:127], v[63:64]
	v_fma_f64 v[176:177], v[242:243], s[54:55], v[148:149]
	v_fma_f64 v[148:149], v[242:243], s[34:35], v[148:149]
	;; [unrolled: 1-line block ×5, first 2 shown]
	v_mul_f64_e32 v[152:153], s[34:35], v[250:251]
	v_fma_f64 v[250:251], v[248:249], s[16:17], v[130:131]
	v_fma_f64 v[174:175], v[242:243], s[52:53], v[65:66]
	;; [unrolled: 1-line block ×3, first 2 shown]
	v_add_f64_e32 v[33:34], v[162:163], v[33:34]
	v_fma_f64 v[130:131], v[248:249], s[16:17], -v[130:131]
	v_mul_f64_e32 v[75:76], s[50:51], v[236:237]
	v_add_f64_e32 v[39:40], v[190:191], v[67:68]
	v_fma_f64 v[65:66], v[242:243], s[18:19], v[65:66]
	v_add_f64_e32 v[11:12], v[102:103], v[11:12]
	v_mul_f64_e32 v[77:78], s[42:43], v[236:237]
	v_fma_f64 v[98:99], v[240:241], s[8:9], v[79:80]
	v_fma_f64 v[122:123], v[232:233], s[44:45], v[71:72]
	;; [unrolled: 1-line block ×3, first 2 shown]
	v_fma_f64 v[69:70], v[240:241], s[28:29], -v[69:70]
	v_fma_f64 v[79:80], v[240:241], s[8:9], -v[79:80]
	v_add_f64_e32 v[47:48], v[164:165], v[47:48]
	v_mul_f64_e32 v[88:89], s[26:27], v[236:237]
	v_mul_f64_e32 v[90:91], s[14:15], v[236:237]
	v_add_f64_e32 v[45:46], v[134:135], v[45:46]
	v_fma_f64 v[124:125], v[232:233], s[54:55], v[73:74]
	v_fma_f64 v[73:74], v[232:233], s[34:35], v[73:74]
	;; [unrolled: 1-line block ×3, first 2 shown]
	v_fma_f64 v[81:82], v[240:241], s[20:21], -v[81:82]
	v_add_f64_e32 v[57:58], v[180:181], v[57:58]
	v_add_f64_e32 v[19:20], v[136:137], v[19:20]
	;; [unrolled: 1-line block ×3, first 2 shown]
	v_fma_f64 v[166:167], v[242:243], s[12:13], v[166:167]
	v_add_f64_e32 v[49:50], v[110:111], v[49:50]
	v_add_f64_e32 v[51:52], v[112:113], v[51:52]
	;; [unrolled: 1-line block ×5, first 2 shown]
	v_mul_f64_e32 v[63:64], s[22:23], v[234:235]
	v_mul_f64_e32 v[61:62], s[28:29], v[234:235]
	v_add_f64_e32 v[41:42], v[116:117], v[41:42]
	v_add_f64_e32 v[55:56], v[156:157], v[55:56]
	;; [unrolled: 1-line block ×3, first 2 shown]
	v_fma_f64 v[144:145], v[248:249], s[20:21], v[152:153]
	v_fma_f64 v[146:147], v[248:249], s[20:21], -v[152:153]
	v_fma_f64 v[152:153], v[248:249], s[28:29], v[132:133]
	v_fma_f64 v[132:133], v[248:249], s[28:29], -v[132:133]
	v_fma_f64 v[104:105], v[240:241], s[16:17], v[83:84]
	v_add_f64_e32 v[1:2], v[130:131], v[1:2]
	v_fma_f64 v[94:95], v[240:241], s[22:23], v[75:76]
	v_fma_f64 v[75:76], v[240:241], s[22:23], -v[75:76]
	v_fma_f64 v[83:84], v[240:241], s[16:17], -v[83:84]
	v_add_f64_e32 v[11:12], v[65:66], v[11:12]
	v_mul_f64_e32 v[65:66], s[2:3], v[234:235]
	v_fma_f64 v[96:97], v[240:241], s[2:3], v[77:78]
	v_add_f64_e32 v[31:32], v[98:99], v[31:32]
	v_add_f64_e32 v[33:34], v[71:72], v[33:34]
	v_fma_f64 v[77:78], v[240:241], s[2:3], -v[77:78]
	v_add_f64_e32 v[17:18], v[79:80], v[17:18]
	v_add_f64_e32 v[23:24], v[140:141], v[23:24]
	v_fma_f64 v[106:107], v[240:241], s[0:1], v[88:89]
	v_fma_f64 v[88:89], v[240:241], s[0:1], -v[88:89]
	v_fma_f64 v[108:109], v[240:241], s[24:25], v[90:91]
	v_mul_f64_e32 v[110:111], s[16:17], v[234:235]
	v_add_f64_e32 v[47:48], v[73:74], v[47:48]
	v_mul_f64_e32 v[73:74], s[28:29], v[224:225]
	v_mul_f64_e32 v[112:113], s[0:1], v[234:235]
	v_add_f64_e32 v[57:58], v[122:123], v[57:58]
	v_add_f64_e32 v[45:46], v[102:103], v[45:46]
	;; [unrolled: 1-line block ×3, first 2 shown]
	v_mul_f64_e32 v[79:80], s[16:17], v[224:225]
	v_fma_f64 v[90:91], v[240:241], s[24:25], -v[90:91]
	v_add_f64_e32 v[49:50], v[166:167], v[49:50]
	v_add_f64_e32 v[13:14], v[148:149], v[13:14]
	;; [unrolled: 1-line block ×4, first 2 shown]
	v_fma_f64 v[118:119], v[232:233], s[12:13], v[63:64]
	v_fma_f64 v[63:64], v[232:233], s[50:51], v[63:64]
	;; [unrolled: 1-line block ×4, first 2 shown]
	v_add_f64_e32 v[43:44], v[160:161], v[43:44]
	v_add_f64_e32 v[27:28], v[144:145], v[27:28]
	;; [unrolled: 1-line block ×10, first 2 shown]
	v_mul_f64_e32 v[81:82], s[2:3], v[224:225]
	v_fma_f64 v[120:121], v[232:233], s[38:39], v[65:66]
	v_fma_f64 v[65:66], v[232:233], s[42:43], v[65:66]
	v_mul_f64_e32 v[83:84], s[20:21], v[224:225]
	v_add_f64_e32 v[59:60], v[184:185], v[59:60]
	v_fma_f64 v[172:173], v[242:243], s[42:43], v[172:173]
	v_mul_f64_e32 v[103:104], s[2:3], v[228:229]
	v_add_f64_e32 v[7:8], v[106:107], v[7:8]
	v_add_f64_e32 v[23:24], v[88:89], v[23:24]
	;; [unrolled: 1-line block ×3, first 2 shown]
	v_fma_f64 v[126:127], v[232:233], s[18:19], v[110:111]
	v_fma_f64 v[110:111], v[232:233], s[52:53], v[110:111]
	v_mul_f64_e32 v[105:106], s[28:29], v[228:229]
	v_fma_f64 v[128:129], v[232:233], s[40:41], v[112:113]
	v_fma_f64 v[112:113], v[232:233], s[26:27], v[112:113]
	;; [unrolled: 1-line block ×4, first 2 shown]
	v_add_f64_e32 v[25:26], v[90:91], v[25:26]
	v_add_f64_e32 v[13:14], v[63:64], v[13:14]
	v_mul_f64_e32 v[63:64], s[24:25], v[224:225]
	v_add_f64_e32 v[11:12], v[61:62], v[11:12]
	v_mul_f64_e32 v[61:62], s[14:15], v[222:223]
	v_add_f64_e32 v[27:28], v[94:95], v[27:28]
	v_add_f64_e32 v[41:42], v[118:119], v[41:42]
	;; [unrolled: 1-line block ×5, first 2 shown]
	v_mul_f64_e32 v[77:78], s[44:45], v[222:223]
	v_fma_f64 v[89:90], v[220:221], s[42:43], v[81:82]
	v_add_f64_e32 v[55:56], v[120:121], v[55:56]
	v_add_f64_e32 v[43:44], v[65:66], v[43:44]
	v_mul_f64_e32 v[65:66], s[48:49], v[222:223]
	v_fma_f64 v[81:82], v[220:221], s[38:39], v[81:82]
	v_add_f64_e32 v[59:60], v[124:125], v[59:60]
	v_add_f64_e32 v[35:36], v[126:127], v[35:36]
	;; [unrolled: 1-line block ×6, first 2 shown]
	v_fma_f64 v[71:72], v[220:221], s[46:47], v[63:64]
	v_fma_f64 v[63:64], v[220:221], s[14:15], v[63:64]
	;; [unrolled: 1-line block ×3, first 2 shown]
	v_fma_f64 v[61:62], v[226:227], s[24:25], -v[61:62]
	v_fma_f64 v[75:76], v[226:227], s[28:29], v[65:66]
	v_fma_f64 v[65:66], v[226:227], s[28:29], -v[65:66]
	v_add_f64_e32 v[59:60], v[87:88], v[59:60]
	v_add_f64_e32 v[35:36], v[89:90], v[35:36]
	v_add_f64_e32 v[49:50], v[81:82], v[49:50]
	v_mul_f64_e32 v[81:82], s[16:17], v[228:229]
	v_add_f64_e32 v[11:12], v[63:64], v[11:12]
	v_mul_f64_e32 v[63:64], s[0:1], v[224:225]
	v_add_f64_e32 v[1:2], v[61:62], v[1:2]
	v_fma_f64 v[61:62], v[220:221], s[36:37], v[73:74]
	v_fma_f64 v[73:74], v[220:221], s[48:49], v[73:74]
	v_add_f64_e32 v[27:28], v[75:76], v[27:28]
	v_mul_f64_e32 v[75:76], s[12:13], v[222:223]
	v_add_f64_e32 v[3:4], v[65:66], v[3:4]
	s_wait_loadcnt 0x0
	v_add_f64_e32 v[53:54], v[53:54], v[150:151]
	v_add_f64_e32 v[150:151], v[154:155], v[168:169]
	;; [unrolled: 1-line block ×3, first 2 shown]
	v_fma_f64 v[65:66], v[220:221], s[40:41], v[63:64]
	v_fma_f64 v[63:64], v[220:221], s[26:27], v[63:64]
	v_add_f64_e32 v[41:42], v[61:62], v[41:42]
	v_add_f64_e32 v[13:14], v[73:74], v[13:14]
	v_mul_f64_e32 v[73:74], s[22:23], v[224:225]
	v_add_f64_e32 v[53:54], v[114:115], v[53:54]
	v_add_f64_e32 v[85:86], v[250:251], v[150:151]
	;; [unrolled: 1-line block ×3, first 2 shown]
	v_mul_f64_e32 v[114:115], s[24:25], v[234:235]
	v_add_f64_e32 v[55:56], v[65:66], v[55:56]
	v_add_f64_e32 v[43:44], v[63:64], v[43:44]
	v_mul_f64_e32 v[63:64], s[38:39], v[222:223]
	v_fma_f64 v[65:66], v[220:221], s[50:51], v[73:74]
	v_fma_f64 v[73:74], v[220:221], s[12:13], v[73:74]
	v_add_f64_e32 v[53:54], v[172:173], v[53:54]
	v_add_f64_e32 v[67:68], v[92:93], v[85:86]
	;; [unrolled: 1-line block ×3, first 2 shown]
	v_fma_f64 v[130:131], v[232:233], s[46:47], v[114:115]
	v_fma_f64 v[91:92], v[220:221], s[54:55], v[83:84]
	;; [unrolled: 1-line block ×4, first 2 shown]
	v_mul_f64_e32 v[101:102], s[20:21], v[228:229]
	v_add_f64_e32 v[57:58], v[65:66], v[57:58]
	v_add_f64_e32 v[33:34], v[73:74], v[33:34]
	;; [unrolled: 1-line block ×4, first 2 shown]
	v_mul_f64_e32 v[85:86], s[8:9], v[224:225]
	v_add_f64_e32 v[39:40], v[130:131], v[39:40]
	v_mul_f64_e32 v[69:70], s[26:27], v[222:223]
	v_add_f64_e32 v[51:52], v[83:84], v[51:52]
	v_add_f64_e32 v[37:38], v[91:92], v[37:38]
	;; [unrolled: 1-line block ×3, first 2 shown]
	v_fma_f64 v[111:112], v[212:213], s[54:55], v[101:102]
	v_fma_f64 v[101:102], v[212:213], s[34:35], v[101:102]
	;; [unrolled: 1-line block ×9, first 2 shown]
	v_fma_f64 v[69:70], v[226:227], s[0:1], -v[69:70]
	v_add_f64_e32 v[35:36], v[111:112], v[35:36]
	v_add_f64_e32 v[49:50], v[101:102], v[49:50]
	;; [unrolled: 1-line block ×5, first 2 shown]
	s_clause 0x1
	scratch_load_b128 v[93:96], off, off offset:1648 th:TH_LOAD_LU
	scratch_load_b128 v[97:100], off, off offset:1664 th:TH_LOAD_LU
	v_add_f64_e32 v[29:30], v[61:62], v[29:30]
	v_fma_f64 v[61:62], v[226:227], s[22:23], v[75:76]
	v_add_f64_e32 v[15:16], v[69:70], v[15:16]
	v_mul_f64_e32 v[69:70], s[52:53], v[222:223]
	v_fma_f64 v[75:76], v[226:227], s[22:23], -v[75:76]
	v_add_f64_e32 v[53:54], v[85:86], v[53:54]
	v_mul_f64_e32 v[85:86], s[36:37], v[214:215]
	v_add_f64_e32 v[39:40], v[115:116], v[39:40]
	v_add_f64_e32 v[31:32], v[61:62], v[31:32]
	v_mul_f64_e32 v[61:62], s[34:35], v[222:223]
	v_fma_f64 v[65:66], v[226:227], s[16:17], v[69:70]
	v_fma_f64 v[69:70], v[226:227], s[16:17], -v[69:70]
	v_add_f64_e32 v[17:18], v[75:76], v[17:18]
	v_fma_f64 v[75:76], v[226:227], s[2:3], v[63:64]
	v_fma_f64 v[63:64], v[226:227], s[2:3], -v[63:64]
	v_add_f64_e32 v[53:54], v[105:106], v[53:54]
	;; [unrolled: 3-line block ×3, first 2 shown]
	v_fma_f64 v[65:66], v[226:227], s[8:9], v[77:78]
	v_add_f64_e32 v[19:20], v[69:70], v[19:20]
	v_add_f64_e32 v[21:22], v[63:64], v[21:22]
	v_mul_f64_e32 v[63:64], s[12:13], v[214:215]
	v_mul_f64_e32 v[69:70], s[22:23], v[228:229]
	v_fma_f64 v[77:78], v[226:227], s[8:9], -v[77:78]
	v_add_f64_e32 v[5:6], v[75:76], v[5:6]
	v_mul_f64_e32 v[75:76], s[8:9], v[228:229]
	v_add_f64_e32 v[73:74], v[73:74], v[7:8]
	v_mul_f64_e32 v[7:8], s[44:45], v[214:215]
	v_add_f64_e32 v[23:24], v[61:62], v[23:24]
	v_mul_f64_e32 v[61:62], s[18:19], v[214:215]
	v_add_f64_e32 v[65:66], v[65:66], v[9:10]
	v_fma_f64 v[79:80], v[218:219], s[22:23], v[63:64]
	v_fma_f64 v[9:10], v[212:213], s[50:51], v[69:70]
	v_fma_f64 v[63:64], v[218:219], s[22:23], -v[63:64]
	v_fma_f64 v[69:70], v[212:213], s[12:13], v[69:70]
	v_add_f64_e32 v[25:26], v[77:78], v[25:26]
	v_fma_f64 v[83:84], v[212:213], s[30:31], v[75:76]
	v_fma_f64 v[75:76], v[212:213], s[44:45], v[75:76]
	;; [unrolled: 1-line block ×3, first 2 shown]
	v_fma_f64 v[7:8], v[218:219], s[8:9], -v[7:8]
	v_add_f64_e32 v[67:68], v[79:80], v[67:68]
	v_fma_f64 v[79:80], v[218:219], s[16:17], v[61:62]
	v_add_f64_e32 v[9:10], v[9:10], v[71:72]
	v_mul_f64_e32 v[71:72], s[46:47], v[214:215]
	v_add_f64_e32 v[63:64], v[63:64], v[1:2]
	v_fma_f64 v[1:2], v[212:213], s[52:53], v[81:82]
	v_add_f64_e32 v[69:70], v[69:70], v[11:12]
	v_mul_f64_e32 v[11:12], s[26:27], v[214:215]
	;; [unrolled: 4-line block ×3, first 2 shown]
	v_add_f64_e32 v[27:28], v[77:78], v[27:28]
	v_mul_f64_e32 v[77:78], s[34:35], v[214:215]
	v_add_f64_e32 v[87:88], v[7:8], v[3:4]
	v_fma_f64 v[3:4], v[218:219], s[16:17], -v[61:62]
	v_add_f64_e32 v[13:14], v[79:80], v[29:30]
	v_fma_f64 v[7:8], v[218:219], s[24:25], v[71:72]
	v_fma_f64 v[29:30], v[218:219], s[24:25], -v[71:72]
	v_add_f64_e32 v[55:56], v[1:2], v[55:56]
	v_fma_f64 v[1:2], v[218:219], s[0:1], v[11:12]
	;; [unrolled: 3-line block ×3, first 2 shown]
	v_fma_f64 v[77:78], v[218:219], s[20:21], -v[77:78]
	v_add_f64_e32 v[117:118], v[3:4], v[15:16]
	v_add_f64_e32 v[31:32], v[7:8], v[31:32]
	;; [unrolled: 1-line block ×6, first 2 shown]
	s_wait_loadcnt 0x0
	v_add_f64_e32 v[61:62], v[93:94], v[97:98]
	v_add_f64_e64 v[71:72], v[93:94], -v[97:98]
	v_mul_f64_e32 v[97:98], s[24:25], v[228:229]
	v_add_f64_e64 v[89:90], v[95:96], -v[99:100]
	v_add_f64_e32 v[91:92], v[95:96], v[99:100]
	v_mul_f64_e32 v[99:100], s[0:1], v[228:229]
	v_fma_f64 v[93:94], v[218:219], s[2:3], v[83:84]
	v_fma_f64 v[83:84], v[218:219], s[2:3], -v[83:84]
	v_fma_f64 v[95:96], v[218:219], s[28:29], v[85:86]
	v_fma_f64 v[85:86], v[218:219], s[28:29], -v[85:86]
	v_fma_f64 v[107:108], v[212:213], s[14:15], v[97:98]
	v_fma_f64 v[97:98], v[212:213], s[46:47], v[97:98]
	v_mul_f64_e32 v[81:82], s[20:21], v[91:92]
	v_fma_f64 v[109:110], v[212:213], s[40:41], v[99:100]
	v_fma_f64 v[99:100], v[212:213], s[26:27], v[99:100]
	v_mul_f64_e32 v[77:78], s[12:13], v[89:90]
	v_add_f64_e32 v[73:74], v[93:94], v[73:74]
	v_mul_f64_e32 v[93:94], s[42:43], v[89:90]
	v_add_f64_e32 v[23:24], v[83:84], v[23:24]
	v_add_f64_e32 v[65:66], v[95:96], v[65:66]
	v_mul_f64_e32 v[95:96], s[44:45], v[89:90]
	v_add_f64_e32 v[25:26], v[85:86], v[25:26]
	v_mul_f64_e32 v[85:86], s[28:29], v[91:92]
	v_add_f64_e32 v[57:58], v[107:108], v[57:58]
	v_add_f64_e32 v[29:30], v[97:98], v[33:34]
	;; [unrolled: 1-line block ×3, first 2 shown]
	s_clause 0x1
	scratch_load_b128 v[1:4], off, off offset:1632 th:TH_LOAD_LU
	scratch_load_b64 v[5:6], off, off offset:1680 th:TH_LOAD_LU
	v_add_f64_e32 v[45:46], v[109:110], v[59:60]
	v_mul_f64_e32 v[59:60], s[34:35], v[89:90]
	v_add_f64_e32 v[47:48], v[99:100], v[47:48]
	v_mul_f64_e32 v[97:98], s[40:41], v[89:90]
	v_mul_f64_e32 v[99:100], s[0:1], v[91:92]
	v_fma_f64 v[7:8], v[71:72], s[54:55], v[81:82]
	v_fma_f64 v[101:102], v[61:62], s[22:23], v[77:78]
	;; [unrolled: 1-line block ×3, first 2 shown]
	v_fma_f64 v[77:78], v[61:62], s[22:23], -v[77:78]
	v_fma_f64 v[11:12], v[61:62], s[0:1], v[97:98]
	v_fma_f64 v[15:16], v[71:72], s[26:27], v[99:100]
	v_add_f64_e32 v[7:8], v[7:8], v[9:10]
	v_add_f64_e32 v[13:14], v[101:102], v[13:14]
	v_mul_f64_e32 v[101:102], s[24:25], v[91:92]
	v_add_f64_e32 v[136:137], v[83:84], v[31:32]
	v_mul_f64_e32 v[83:84], s[16:17], v[91:92]
	v_add_f64_e32 v[156:157], v[77:78], v[117:118]
	v_add_f64_e32 v[9:10], v[11:12], v[27:28]
	;; [unrolled: 1-line block ×3, first 2 shown]
	v_mul_f64_e32 v[27:28], s[2:3], v[91:92]
	v_mul_f64_e32 v[41:42], s[14:15], v[89:90]
	v_fma_f64 v[31:32], v[71:72], s[46:47], v[101:102]
	s_delay_alu instid0(VALU_DEP_2) | instskip(NEXT) | instid1(VALU_DEP_2)
	v_fma_f64 v[103:104], v[61:62], s[24:25], v[41:42]
	v_add_f64_e32 v[142:143], v[31:32], v[45:46]
	v_mul_f64_e32 v[45:46], s[52:53], v[89:90]
	v_fma_f64 v[41:42], v[61:62], s[24:25], -v[41:42]
	s_delay_alu instid0(VALU_DEP_4) | instskip(SKIP_2) | instid1(VALU_DEP_4)
	v_add_f64_e32 v[140:141], v[103:104], v[33:34]
	v_mul_f64_e32 v[33:34], s[36:37], v[89:90]
	v_fma_f64 v[89:90], v[61:62], s[0:1], -v[97:98]
	v_add_f64_e32 v[204:205], v[41:42], v[19:20]
	s_delay_alu instid0(VALU_DEP_2)
	v_add_f64_e32 v[152:153], v[89:90], v[87:88]
	s_wait_loadcnt 0x0
	v_add_f64_e32 v[1:2], v[5:6], v[1:2]
	scratch_load_b64 v[5:6], off, off offset:1688 th:TH_LOAD_LU ; 8-byte Folded Reload
	global_wb scope:SCOPE_SE
	s_wait_loadcnt 0x0
	s_wait_storecnt 0x0
	s_barrier_signal -1
	s_barrier_wait -1
	global_inv scope:SCOPE_SE
	v_add_f64_e32 v[3:4], v[5:6], v[3:4]
	v_fma_f64 v[5:6], v[61:62], s[20:21], v[59:60]
	v_fma_f64 v[59:60], v[61:62], s[20:21], -v[59:60]
	s_delay_alu instid0(VALU_DEP_2) | instskip(SKIP_1) | instid1(VALU_DEP_3)
	v_add_f64_e32 v[5:6], v[5:6], v[67:68]
	v_mul_f64_e32 v[67:68], s[22:23], v[91:92]
	v_add_f64_e32 v[148:149], v[59:60], v[63:64]
	s_delay_alu instid0(VALU_DEP_2) | instskip(SKIP_1) | instid1(VALU_DEP_2)
	v_fma_f64 v[15:16], v[71:72], s[50:51], v[67:68]
	v_fma_f64 v[67:68], v[71:72], s[12:13], v[67:68]
	v_add_f64_e32 v[15:16], v[15:16], v[55:56]
	v_fma_f64 v[55:56], v[71:72], s[38:39], v[27:28]
	v_fma_f64 v[27:28], v[71:72], s[42:43], v[27:28]
	s_delay_alu instid0(VALU_DEP_4) | instskip(NEXT) | instid1(VALU_DEP_3)
	v_add_f64_e32 v[158:159], v[67:68], v[43:44]
	v_add_f64_e32 v[138:139], v[55:56], v[57:58]
	v_mul_f64_e32 v[55:56], s[8:9], v[91:92]
	v_fma_f64 v[57:58], v[61:62], s[8:9], v[95:96]
	v_fma_f64 v[91:92], v[61:62], s[2:3], -v[93:94]
	v_fma_f64 v[93:94], v[61:62], s[8:9], -v[95:96]
	v_fma_f64 v[95:96], v[71:72], s[40:41], v[99:100]
	v_add_f64_e32 v[202:203], v[27:28], v[29:30]
	v_fma_f64 v[31:32], v[71:72], s[30:31], v[55:56]
	v_add_f64_e32 v[144:145], v[57:58], v[79:80]
	v_fma_f64 v[79:80], v[71:72], s[48:49], v[85:86]
	v_fma_f64 v[57:58], v[71:72], s[18:19], v[83:84]
	;; [unrolled: 1-line block ×3, first 2 shown]
	v_add_f64_e32 v[208:209], v[93:94], v[21:22]
	v_add_f64_e32 v[200:201], v[91:92], v[17:18]
	;; [unrolled: 1-line block ×4, first 2 shown]
	v_fma_f64 v[31:32], v[61:62], s[28:29], v[33:34]
	v_fma_f64 v[35:36], v[61:62], s[16:17], v[45:46]
	v_fma_f64 v[33:34], v[61:62], s[28:29], -v[33:34]
	v_fma_f64 v[45:46], v[61:62], s[16:17], -v[45:46]
	v_fma_f64 v[61:62], v[71:72], s[52:53], v[83:84]
	v_fma_f64 v[83:84], v[71:72], s[36:37], v[85:86]
	;; [unrolled: 1-line block ×4, first 2 shown]
	v_add_f64_e32 v[214:215], v[79:80], v[37:38]
	v_add_f64_e32 v[222:223], v[57:58], v[39:40]
	;; [unrolled: 1-line block ×11, first 2 shown]
	ds_store_b128 v255, v[1:4]
	ds_store_b128 v255, v[5:8] offset:16
	ds_store_b128 v255, v[9:12] offset:32
	;; [unrolled: 1-line block ×16, first 2 shown]
	s_and_saveexec_b32 s33, vcc_lo
	s_cbranch_execz .LBB0_13
; %bb.12:
	s_clause 0xf
	scratch_load_b128 v[132:135], off, off offset:1376 th:TH_LOAD_LU
	scratch_load_b128 v[37:40], off, off offset:1392 th:TH_LOAD_LU
	;; [unrolled: 1-line block ×16, first 2 shown]
	s_wait_loadcnt 0xe
	v_add_f64_e32 v[1:2], v[134:135], v[39:40]
	v_add_f64_e32 v[3:4], v[132:133], v[37:38]
	s_wait_loadcnt 0xc
	v_add_f64_e64 v[5:6], v[37:38], -v[69:70]
	v_add_f64_e32 v[9:10], v[39:40], v[71:72]
	v_add_f64_e64 v[7:8], v[39:40], -v[71:72]
	v_add_f64_e32 v[37:38], v[37:38], v[69:70]
	s_wait_loadcnt 0x5
	v_add_f64_e64 v[136:137], v[25:26], -v[73:74]
	v_add_f64_e64 v[138:139], v[27:28], -v[75:76]
	v_add_f64_e32 v[106:107], v[27:28], v[75:76]
	v_add_f64_e32 v[104:105], v[25:26], v[73:74]
	s_wait_loadcnt 0x3
	v_add_f64_e64 v[142:143], v[31:32], -v[77:78]
	v_add_f64_e64 v[108:109], v[33:34], -v[79:80]
	v_add_f64_e32 v[98:99], v[33:34], v[79:80]
	v_add_f64_e32 v[96:97], v[31:32], v[77:78]
	v_add_f64_e64 v[140:141], v[59:60], -v[63:64]
	s_wait_loadcnt 0x2
	v_add_f64_e64 v[144:145], v[41:42], -v[81:82]
	s_wait_loadcnt 0x0
	v_add_f64_e64 v[17:18], v[55:56], -v[114:115]
	v_add_f64_e64 v[112:113], v[61:62], -v[65:66]
	v_add_f64_e32 v[102:103], v[61:62], v[65:66]
	v_add_f64_e32 v[100:101], v[59:60], v[63:64]
	v_add_f64_e64 v[110:111], v[43:44], -v[83:84]
	v_add_f64_e32 v[39:40], v[43:44], v[83:84]
	v_add_f64_e32 v[92:93], v[41:42], v[81:82]
	;; [unrolled: 3-line block ×3, first 2 shown]
	v_mul_f64_e32 v[11:12], s[34:35], v[5:6]
	v_mul_f64_e32 v[15:16], s[12:13], v[5:6]
	;; [unrolled: 1-line block ×15, first 2 shown]
	v_add_f64_e32 v[1:2], v[1:2], v[57:58]
	v_add_f64_e32 v[3:4], v[3:4], v[55:56]
	v_fma_f64 v[67:68], v[9:10], s[16:17], v[23:24]
	v_fma_f64 v[23:24], v[9:10], s[16:17], -v[23:24]
	s_delay_alu instid0(VALU_DEP_4) | instskip(NEXT) | instid1(VALU_DEP_4)
	v_add_f64_e32 v[1:2], v[1:2], v[49:50]
	v_add_f64_e32 v[3:4], v[3:4], v[47:48]
	;; [unrolled: 1-line block ×9, first 2 shown]
	s_delay_alu instid0(VALU_DEP_4) | instskip(NEXT) | instid1(VALU_DEP_4)
	v_add_f64_e32 v[1:2], v[1:2], v[33:34]
	v_add_f64_e32 v[3:4], v[3:4], v[31:32]
	v_add_f64_e64 v[31:32], v[49:50], -v[87:88]
	v_add_f64_e64 v[33:34], v[57:58], -v[116:117]
	v_add_f64_e32 v[49:50], v[55:56], v[114:115]
	v_mul_f64_e32 v[55:56], s[12:13], v[7:8]
	v_mul_f64_e32 v[57:58], s[14:15], v[7:8]
	v_fma_f64 v[214:215], v[43:44], s[28:29], v[208:209]
	v_fma_f64 v[208:209], v[43:44], s[28:29], -v[208:209]
	v_fma_f64 v[216:217], v[43:44], s[20:21], -v[210:211]
	v_fma_f64 v[210:211], v[43:44], s[20:21], v[210:211]
	v_fma_f64 v[238:239], v[41:42], s[28:29], -v[232:233]
	v_fma_f64 v[232:233], v[41:42], s[28:29], v[232:233]
	v_add_f64_e32 v[1:2], v[1:2], v[61:62]
	v_add_f64_e32 v[3:4], v[3:4], v[59:60]
	v_fma_f64 v[59:60], v[9:10], s[20:21], v[11:12]
	v_fma_f64 v[11:12], v[9:10], s[20:21], -v[11:12]
	v_fma_f64 v[61:62], v[9:10], s[22:23], v[15:16]
	v_fma_f64 v[15:16], v[9:10], s[22:23], -v[15:16]
	v_mul_f64_e32 v[220:221], s[48:49], v[33:34]
	v_mul_f64_e32 v[222:223], s[54:55], v[33:34]
	v_add_f64_e32 v[1:2], v[1:2], v[27:28]
	v_add_f64_e32 v[3:4], v[3:4], v[25:26]
	v_mul_f64_e32 v[25:26], s[30:31], v[5:6]
	v_mul_f64_e32 v[27:28], s[38:39], v[5:6]
	;; [unrolled: 1-line block ×3, first 2 shown]
	v_add_f64_e32 v[11:12], v[134:135], v[11:12]
	v_add_f64_e32 v[61:62], v[134:135], v[61:62]
	;; [unrolled: 1-line block ×3, first 2 shown]
	v_fma_f64 v[226:227], v[49:50], s[28:29], -v[220:221]
	v_fma_f64 v[220:221], v[49:50], s[28:29], v[220:221]
	v_fma_f64 v[228:229], v[49:50], s[20:21], v[222:223]
	v_fma_f64 v[222:223], v[49:50], s[20:21], -v[222:223]
	v_add_f64_e32 v[1:2], v[1:2], v[75:76]
	v_add_f64_e32 v[3:4], v[3:4], v[73:74]
	scratch_load_b128 v[73:76], off, off offset:1616 th:TH_LOAD_LU ; 16-byte Folded Reload
	v_add_f64_e32 v[1:2], v[1:2], v[65:66]
	v_add_f64_e32 v[3:4], v[3:4], v[63:64]
	v_fma_f64 v[63:64], v[9:10], s[24:25], v[19:20]
	v_fma_f64 v[19:20], v[9:10], s[24:25], -v[19:20]
	v_fma_f64 v[65:66], v[9:10], s[28:29], v[21:22]
	v_fma_f64 v[21:22], v[9:10], s[28:29], -v[21:22]
	v_add_f64_e32 v[1:2], v[1:2], v[79:80]
	v_add_f64_e32 v[3:4], v[3:4], v[77:78]
	;; [unrolled: 1-line block ×8, first 2 shown]
	v_mul_f64_e32 v[80:81], s[38:39], v[7:8]
	s_delay_alu instid0(VALU_DEP_3) | instskip(NEXT) | instid1(VALU_DEP_3)
	v_add_f64_e32 v[1:2], v[1:2], v[87:88]
	v_add_f64_e32 v[3:4], v[3:4], v[85:86]
	v_fma_f64 v[84:85], v[37:38], s[22:23], -v[55:56]
	v_fma_f64 v[55:56], v[37:38], s[22:23], v[55:56]
	v_fma_f64 v[86:87], v[37:38], s[24:25], -v[57:58]
	v_fma_f64 v[57:58], v[37:38], s[24:25], v[57:58]
	v_add_f64_e32 v[1:2], v[1:2], v[116:117]
	v_add_f64_e32 v[3:4], v[3:4], v[114:115]
	v_fma_f64 v[114:115], v[37:38], s[2:3], v[80:81]
	v_fma_f64 v[80:81], v[37:38], s[2:3], -v[80:81]
	v_add_f64_e32 v[84:85], v[132:133], v[84:85]
	v_add_f64_e32 v[55:56], v[132:133], v[55:56]
	;; [unrolled: 1-line block ×4, first 2 shown]
	v_mul_f64_e32 v[86:87], s[14:15], v[144:145]
	v_add_f64_e32 v[114:115], v[132:133], v[114:115]
	v_add_f64_e32 v[128:129], v[132:133], v[80:81]
	v_mul_f64_e32 v[80:81], s[42:43], v[13:14]
	s_wait_loadcnt 0x0
	v_add_f64_e32 v[1:2], v[1:2], v[75:76]
	v_add_f64_e32 v[3:4], v[3:4], v[73:74]
	v_add_f64_e64 v[29:30], v[51:52], -v[73:74]
	v_add_f64_e64 v[35:36], v[53:54], -v[75:76]
	v_add_f64_e32 v[45:46], v[53:54], v[75:76]
	v_add_f64_e32 v[51:52], v[51:52], v[73:74]
	v_mul_f64_e32 v[53:54], s[34:35], v[7:8]
	v_mul_f64_e32 v[73:74], s[30:31], v[7:8]
	v_add_f64_e32 v[78:79], v[1:2], v[71:72]
	v_fma_f64 v[1:2], v[9:10], s[8:9], -v[25:26]
	v_add_f64_e32 v[76:77], v[3:4], v[69:70]
	v_fma_f64 v[3:4], v[9:10], s[2:3], -v[27:28]
	v_fma_f64 v[69:70], v[9:10], s[0:1], -v[5:6]
	v_fma_f64 v[25:26], v[9:10], s[8:9], v[25:26]
	v_fma_f64 v[27:28], v[9:10], s[2:3], v[27:28]
	;; [unrolled: 1-line block ×3, first 2 shown]
	v_mul_f64_e32 v[9:10], s[36:37], v[7:8]
	v_mul_f64_e32 v[71:72], s[18:19], v[7:8]
	;; [unrolled: 1-line block ×3, first 2 shown]
	v_fma_f64 v[82:83], v[37:38], s[20:21], -v[53:54]
	v_fma_f64 v[53:54], v[37:38], s[20:21], v[53:54]
	v_fma_f64 v[94:95], v[37:38], s[8:9], v[73:74]
	v_fma_f64 v[73:74], v[37:38], s[8:9], -v[73:74]
	v_mul_f64_e32 v[156:157], s[38:39], v[29:30]
	v_mul_f64_e32 v[158:159], s[38:39], v[35:36]
	;; [unrolled: 1-line block ×6, first 2 shown]
	v_add_f64_e32 v[124:125], v[134:135], v[1:2]
	v_mul_f64_e32 v[1:2], s[40:41], v[29:30]
	v_add_f64_e32 v[126:127], v[134:135], v[3:4]
	v_add_f64_e32 v[25:26], v[134:135], v[25:26]
	;; [unrolled: 1-line block ×4, first 2 shown]
	v_fma_f64 v[88:89], v[37:38], s[28:29], -v[9:10]
	v_fma_f64 v[9:10], v[37:38], s[28:29], v[9:10]
	v_fma_f64 v[90:91], v[37:38], s[16:17], -v[71:72]
	v_fma_f64 v[71:72], v[37:38], s[16:17], v[71:72]
	v_fma_f64 v[116:117], v[37:38], s[0:1], v[7:8]
	v_fma_f64 v[7:8], v[37:38], s[0:1], -v[7:8]
	v_add_f64_e32 v[37:38], v[134:135], v[59:60]
	v_mul_f64_e32 v[5:6], s[40:41], v[35:36]
	v_add_f64_e32 v[59:60], v[132:133], v[82:83]
	v_add_f64_e32 v[53:54], v[132:133], v[53:54]
	;; [unrolled: 1-line block ×3, first 2 shown]
	v_mul_f64_e32 v[82:83], s[42:43], v[31:32]
	v_fma_f64 v[190:191], v[45:46], s[20:21], v[184:185]
	v_fma_f64 v[184:185], v[45:46], s[20:21], -v[184:185]
	v_fma_f64 v[192:193], v[45:46], s[24:25], -v[186:187]
	v_fma_f64 v[186:187], v[45:46], s[24:25], v[186:187]
	v_fma_f64 v[202:203], v[51:52], s[20:21], -v[196:197]
	v_fma_f64 v[196:197], v[51:52], s[20:21], v[196:197]
	v_fma_f64 v[204:205], v[51:52], s[24:25], v[198:199]
	v_fma_f64 v[198:199], v[51:52], s[24:25], -v[198:199]
	v_fma_f64 v[3:4], v[45:46], s[0:1], v[1:2]
	v_fma_f64 v[1:2], v[45:46], s[0:1], -v[1:2]
	v_add_f64_e32 v[88:89], v[132:133], v[88:89]
	v_add_f64_e32 v[120:121], v[132:133], v[9:10]
	;; [unrolled: 1-line block ×8, first 2 shown]
	v_fma_f64 v[7:8], v[51:52], s[0:1], -v[5:6]
	v_mul_f64_e32 v[134:135], s[14:15], v[110:111]
	v_fma_f64 v[5:6], v[51:52], s[0:1], v[5:6]
	v_add_f64_e32 v[67:68], v[190:191], v[67:68]
	v_add_f64_e32 v[23:24], v[184:185], v[23:24]
	;; [unrolled: 1-line block ×5, first 2 shown]
	v_mul_f64_e32 v[37:38], s[12:13], v[17:18]
	v_add_f64_e32 v[1:2], v[1:2], v[11:12]
	v_mul_f64_e32 v[11:12], s[18:19], v[17:18]
	v_add_f64_e32 v[90:91], v[202:203], v[90:91]
	v_add_f64_e32 v[122:123], v[196:197], v[122:123]
	;; [unrolled: 1-line block ×9, first 2 shown]
	v_fma_f64 v[59:60], v[43:44], s[22:23], v[37:38]
	v_add_f64_e32 v[116:117], v[222:223], v[116:117]
	s_delay_alu instid0(VALU_DEP_4) | instskip(NEXT) | instid1(VALU_DEP_3)
	v_add_f64_e32 v[25:26], v[232:233], v[25:26]
	v_add_f64_e32 v[3:4], v[59:60], v[3:4]
	v_mul_f64_e32 v[59:60], s[12:13], v[33:34]
	s_delay_alu instid0(VALU_DEP_1) | instskip(NEXT) | instid1(VALU_DEP_1)
	v_fma_f64 v[71:72], v[49:50], s[22:23], -v[59:60]
	v_add_f64_e32 v[7:8], v[71:72], v[7:8]
	v_fma_f64 v[71:72], v[41:42], s[2:3], v[80:81]
	s_delay_alu instid0(VALU_DEP_1) | instskip(SKIP_1) | instid1(VALU_DEP_1)
	v_add_f64_e32 v[3:4], v[71:72], v[3:4]
	v_fma_f64 v[71:72], v[47:48], s[2:3], -v[82:83]
	v_add_f64_e32 v[7:8], v[71:72], v[7:8]
	v_fma_f64 v[71:72], v[39:40], s[24:25], v[86:87]
	s_delay_alu instid0(VALU_DEP_1) | instskip(SKIP_1) | instid1(VALU_DEP_1)
	v_add_f64_e32 v[3:4], v[71:72], v[3:4]
	;; [unrolled: 5-line block ×5, first 2 shown]
	v_mul_f64_e32 v[3:4], s[52:53], v[138:139]
	v_fma_f64 v[71:72], v[104:105], s[16:17], -v[3:4]
	v_fma_f64 v[3:4], v[104:105], s[16:17], v[3:4]
	s_delay_alu instid0(VALU_DEP_2) | instskip(SKIP_2) | instid1(VALU_DEP_2)
	v_add_f64_e32 v[72:73], v[71:72], v[7:8]
	v_fma_f64 v[7:8], v[43:44], s[22:23], -v[37:38]
	v_fma_f64 v[37:38], v[43:44], s[16:17], v[11:12]
	v_add_f64_e32 v[1:2], v[7:8], v[1:2]
	v_fma_f64 v[7:8], v[49:50], s[22:23], v[59:60]
	s_delay_alu instid0(VALU_DEP_1) | instskip(SKIP_1) | instid1(VALU_DEP_1)
	v_add_f64_e32 v[5:6], v[7:8], v[5:6]
	v_fma_f64 v[7:8], v[41:42], s[2:3], -v[80:81]
	v_add_f64_e32 v[1:2], v[7:8], v[1:2]
	v_fma_f64 v[7:8], v[47:48], s[2:3], v[82:83]
	s_delay_alu instid0(VALU_DEP_1) | instskip(SKIP_1) | instid1(VALU_DEP_1)
	v_add_f64_e32 v[5:6], v[7:8], v[5:6]
	v_fma_f64 v[7:8], v[39:40], s[24:25], -v[86:87]
	v_add_f64_e32 v[1:2], v[7:8], v[1:2]
	v_fma_f64 v[7:8], v[92:93], s[24:25], v[134:135]
	v_mul_f64_e32 v[134:135], s[26:27], v[110:111]
	s_delay_alu instid0(VALU_DEP_2) | instskip(SKIP_2) | instid1(VALU_DEP_2)
	v_add_f64_e32 v[5:6], v[7:8], v[5:6]
	v_fma_f64 v[7:8], v[98:99], s[8:9], -v[146:147]
	v_mul_f64_e32 v[146:147], s[34:35], v[142:143]
	v_add_f64_e32 v[1:2], v[7:8], v[1:2]
	v_fma_f64 v[7:8], v[96:97], s[8:9], v[148:149]
	v_mul_f64_e32 v[148:149], s[34:35], v[108:109]
	s_delay_alu instid0(VALU_DEP_2) | instskip(SKIP_2) | instid1(VALU_DEP_2)
	v_add_f64_e32 v[5:6], v[7:8], v[5:6]
	v_fma_f64 v[7:8], v[102:103], s[28:29], -v[150:151]
	v_mul_f64_e32 v[150:151], s[42:43], v[140:141]
	v_add_f64_e32 v[1:2], v[7:8], v[1:2]
	v_fma_f64 v[7:8], v[100:101], s[28:29], v[152:153]
	v_mul_f64_e32 v[152:153], s[42:43], v[112:113]
	s_delay_alu instid0(VALU_DEP_2) | instskip(SKIP_2) | instid1(VALU_DEP_3)
	v_add_f64_e32 v[5:6], v[7:8], v[5:6]
	v_fma_f64 v[7:8], v[106:107], s[16:17], -v[154:155]
	v_mul_f64_e32 v[154:155], s[36:37], v[136:137]
	v_add_f64_e32 v[80:81], v[3:4], v[5:6]
	s_delay_alu instid0(VALU_DEP_3) | instskip(SKIP_2) | instid1(VALU_DEP_2)
	v_add_f64_e32 v[82:83], v[7:8], v[1:2]
	v_mul_f64_e32 v[1:2], s[44:45], v[29:30]
	v_mul_f64_e32 v[5:6], s[44:45], v[35:36]
	v_fma_f64 v[3:4], v[45:46], s[8:9], v[1:2]
	s_delay_alu instid0(VALU_DEP_2) | instskip(SKIP_2) | instid1(VALU_DEP_4)
	v_fma_f64 v[7:8], v[51:52], s[8:9], -v[5:6]
	v_fma_f64 v[1:2], v[45:46], s[8:9], -v[1:2]
	v_fma_f64 v[5:6], v[51:52], s[8:9], v[5:6]
	v_add_f64_e32 v[3:4], v[3:4], v[61:62]
	s_delay_alu instid0(VALU_DEP_4) | instskip(NEXT) | instid1(VALU_DEP_4)
	v_add_f64_e32 v[7:8], v[7:8], v[84:85]
	v_add_f64_e32 v[1:2], v[1:2], v[15:16]
	s_delay_alu instid0(VALU_DEP_4) | instskip(SKIP_4) | instid1(VALU_DEP_1)
	v_add_f64_e32 v[5:6], v[5:6], v[55:56]
	v_mul_f64_e32 v[15:16], s[48:49], v[29:30]
	v_mul_f64_e32 v[55:56], s[26:27], v[33:34]
	v_add_f64_e32 v[3:4], v[37:38], v[3:4]
	v_mul_f64_e32 v[37:38], s[18:19], v[33:34]
	v_fma_f64 v[53:54], v[49:50], s[16:17], -v[37:38]
	s_delay_alu instid0(VALU_DEP_1) | instskip(SKIP_1) | instid1(VALU_DEP_1)
	v_add_f64_e32 v[7:8], v[53:54], v[7:8]
	v_mul_f64_e32 v[53:54], s[46:47], v[13:14]
	v_fma_f64 v[59:60], v[41:42], s[24:25], v[53:54]
	s_delay_alu instid0(VALU_DEP_1) | instskip(SKIP_1) | instid1(VALU_DEP_1)
	v_add_f64_e32 v[3:4], v[59:60], v[3:4]
	v_mul_f64_e32 v[59:60], s[46:47], v[31:32]
	v_fma_f64 v[61:62], v[47:48], s[24:25], -v[59:60]
	s_delay_alu instid0(VALU_DEP_1) | instskip(SKIP_1) | instid1(VALU_DEP_1)
	v_add_f64_e32 v[7:8], v[61:62], v[7:8]
	v_mul_f64_e32 v[61:62], s[26:27], v[144:145]
	v_fma_f64 v[84:85], v[39:40], s[0:1], v[61:62]
	s_delay_alu instid0(VALU_DEP_1) | instskip(SKIP_1) | instid1(VALU_DEP_1)
	v_add_f64_e32 v[3:4], v[84:85], v[3:4]
	v_fma_f64 v[84:85], v[92:93], s[0:1], -v[134:135]
	v_add_f64_e32 v[7:8], v[84:85], v[7:8]
	v_fma_f64 v[84:85], v[98:99], s[20:21], v[146:147]
	s_delay_alu instid0(VALU_DEP_1) | instskip(SKIP_1) | instid1(VALU_DEP_1)
	v_add_f64_e32 v[3:4], v[84:85], v[3:4]
	v_fma_f64 v[84:85], v[96:97], s[20:21], -v[148:149]
	v_add_f64_e32 v[7:8], v[84:85], v[7:8]
	;; [unrolled: 5-line block ×3, first 2 shown]
	v_fma_f64 v[84:85], v[106:107], s[28:29], v[154:155]
	s_delay_alu instid0(VALU_DEP_1) | instskip(SKIP_1) | instid1(VALU_DEP_1)
	v_add_f64_e32 v[86:87], v[84:85], v[3:4]
	v_mul_f64_e32 v[3:4], s[36:37], v[138:139]
	v_fma_f64 v[84:85], v[104:105], s[28:29], -v[3:4]
	s_delay_alu instid0(VALU_DEP_1) | instskip(SKIP_2) | instid1(VALU_DEP_2)
	v_add_f64_e32 v[84:85], v[84:85], v[7:8]
	v_fma_f64 v[7:8], v[43:44], s[16:17], -v[11:12]
	v_fma_f64 v[11:12], v[104:105], s[28:29], v[3:4]
	v_add_f64_e32 v[1:2], v[7:8], v[1:2]
	v_fma_f64 v[7:8], v[49:50], s[16:17], v[37:38]
	v_mul_f64_e32 v[37:38], s[48:49], v[35:36]
	s_delay_alu instid0(VALU_DEP_2) | instskip(SKIP_2) | instid1(VALU_DEP_2)
	v_add_f64_e32 v[5:6], v[7:8], v[5:6]
	v_fma_f64 v[7:8], v[41:42], s[24:25], -v[53:54]
	v_mul_f64_e32 v[53:54], s[26:27], v[17:18]
	v_add_f64_e32 v[1:2], v[7:8], v[1:2]
	v_fma_f64 v[7:8], v[47:48], s[24:25], v[59:60]
	v_mul_f64_e32 v[59:60], s[12:13], v[13:14]
	s_delay_alu instid0(VALU_DEP_2) | instskip(SKIP_2) | instid1(VALU_DEP_2)
	v_add_f64_e32 v[5:6], v[7:8], v[5:6]
	v_fma_f64 v[7:8], v[39:40], s[0:1], -v[61:62]
	v_mul_f64_e32 v[61:62], s[12:13], v[31:32]
	v_add_f64_e32 v[1:2], v[7:8], v[1:2]
	v_fma_f64 v[7:8], v[92:93], s[0:1], v[134:135]
	v_mul_f64_e32 v[134:135], s[38:39], v[142:143]
	s_delay_alu instid0(VALU_DEP_2) | instskip(SKIP_2) | instid1(VALU_DEP_2)
	v_add_f64_e32 v[5:6], v[7:8], v[5:6]
	v_fma_f64 v[7:8], v[98:99], s[20:21], -v[146:147]
	v_mul_f64_e32 v[146:147], s[38:39], v[108:109]
	v_add_f64_e32 v[1:2], v[7:8], v[1:2]
	v_fma_f64 v[7:8], v[96:97], s[20:21], v[148:149]
	v_mul_f64_e32 v[148:149], s[34:35], v[140:141]
	s_delay_alu instid0(VALU_DEP_2) | instskip(SKIP_2) | instid1(VALU_DEP_2)
	v_add_f64_e32 v[5:6], v[7:8], v[5:6]
	v_fma_f64 v[7:8], v[102:103], s[2:3], -v[150:151]
	v_mul_f64_e32 v[150:151], s[34:35], v[112:113]
	v_add_f64_e32 v[1:2], v[7:8], v[1:2]
	v_fma_f64 v[7:8], v[100:101], s[2:3], v[152:153]
	v_mul_f64_e32 v[152:153], s[44:45], v[136:137]
	s_delay_alu instid0(VALU_DEP_2) | instskip(SKIP_2) | instid1(VALU_DEP_2)
	v_add_f64_e32 v[5:6], v[7:8], v[5:6]
	v_fma_f64 v[7:8], v[106:107], s[28:29], -v[154:155]
	v_mul_f64_e32 v[154:155], s[44:45], v[138:139]
	v_add_f64_e32 v[3:4], v[7:8], v[1:2]
	s_delay_alu instid0(VALU_DEP_4)
	v_add_f64_e32 v[1:2], v[11:12], v[5:6]
	v_fma_f64 v[5:6], v[45:46], s[28:29], v[15:16]
	v_fma_f64 v[7:8], v[51:52], s[28:29], -v[37:38]
	v_fma_f64 v[11:12], v[43:44], s[0:1], v[53:54]
	v_fma_f64 v[15:16], v[45:46], s[28:29], -v[15:16]
	;; [unrolled: 2-line block ×3, first 2 shown]
	v_add_f64_e32 v[5:6], v[5:6], v[63:64]
	v_add_f64_e32 v[7:8], v[7:8], v[118:119]
	v_mul_f64_e32 v[63:64], s[52:53], v[144:145]
	v_mul_f64_e32 v[118:119], s[52:53], v[110:111]
	v_add_f64_e32 v[15:16], v[15:16], v[19:20]
	v_mul_f64_e32 v[19:20], s[30:31], v[13:14]
	v_add_f64_e32 v[37:38], v[37:38], v[57:58]
	v_add_f64_e32 v[5:6], v[11:12], v[5:6]
	v_fma_f64 v[11:12], v[49:50], s[0:1], -v[55:56]
	v_fma_f64 v[55:56], v[49:50], s[0:1], v[55:56]
	v_add_f64_e32 v[15:16], v[53:54], v[15:16]
	v_mul_f64_e32 v[53:54], s[40:41], v[31:32]
	v_fma_f64 v[234:235], v[41:42], s[8:9], v[19:20]
	v_fma_f64 v[19:20], v[41:42], s[8:9], -v[19:20]
	v_add_f64_e32 v[7:8], v[11:12], v[7:8]
	v_fma_f64 v[11:12], v[41:42], s[22:23], v[59:60]
	v_fma_f64 v[59:60], v[41:42], s[22:23], -v[59:60]
	v_add_f64_e32 v[37:38], v[55:56], v[37:38]
	s_delay_alu instid0(VALU_DEP_3) | instskip(SKIP_4) | instid1(VALU_DEP_4)
	v_add_f64_e32 v[5:6], v[11:12], v[5:6]
	v_fma_f64 v[11:12], v[47:48], s[22:23], -v[61:62]
	v_fma_f64 v[61:62], v[47:48], s[22:23], v[61:62]
	v_add_f64_e32 v[15:16], v[59:60], v[15:16]
	v_mul_f64_e32 v[59:60], s[50:51], v[144:145]
	v_add_f64_e32 v[7:8], v[11:12], v[7:8]
	v_fma_f64 v[11:12], v[39:40], s[16:17], v[63:64]
	v_add_f64_e32 v[37:38], v[61:62], v[37:38]
	v_fma_f64 v[63:64], v[39:40], s[16:17], -v[63:64]
	s_delay_alu instid0(VALU_DEP_3) | instskip(SKIP_1) | instid1(VALU_DEP_3)
	v_add_f64_e32 v[5:6], v[11:12], v[5:6]
	v_fma_f64 v[11:12], v[92:93], s[16:17], -v[118:119]
	v_add_f64_e32 v[15:16], v[63:64], v[15:16]
	v_mul_f64_e32 v[63:64], s[42:43], v[110:111]
	s_delay_alu instid0(VALU_DEP_3) | instskip(SKIP_1) | instid1(VALU_DEP_1)
	v_add_f64_e32 v[7:8], v[11:12], v[7:8]
	v_fma_f64 v[11:12], v[98:99], s[2:3], v[134:135]
	v_add_f64_e32 v[5:6], v[11:12], v[5:6]
	v_fma_f64 v[11:12], v[96:97], s[2:3], -v[146:147]
	s_delay_alu instid0(VALU_DEP_1) | instskip(SKIP_1) | instid1(VALU_DEP_1)
	v_add_f64_e32 v[7:8], v[11:12], v[7:8]
	v_fma_f64 v[11:12], v[102:103], s[20:21], v[148:149]
	v_add_f64_e32 v[5:6], v[11:12], v[5:6]
	v_fma_f64 v[11:12], v[100:101], s[20:21], -v[150:151]
	s_delay_alu instid0(VALU_DEP_1) | instskip(SKIP_1) | instid1(VALU_DEP_1)
	;; [unrolled: 5-line block ×3, first 2 shown]
	v_add_f64_e32 v[5:6], v[5:6], v[11:12]
	v_fma_f64 v[11:12], v[45:46], s[2:3], -v[156:157]
	v_add_f64_e32 v[9:10], v[11:12], v[9:10]
	v_fma_f64 v[11:12], v[51:52], s[2:3], v[158:159]
	s_delay_alu instid0(VALU_DEP_1) | instskip(SKIP_1) | instid1(VALU_DEP_1)
	v_add_f64_e32 v[11:12], v[11:12], v[69:70]
	v_mul_f64_e32 v[69:70], s[30:31], v[17:18]
	v_fma_f64 v[160:161], v[43:44], s[8:9], -v[69:70]
	s_delay_alu instid0(VALU_DEP_1) | instskip(SKIP_1) | instid1(VALU_DEP_1)
	v_add_f64_e32 v[9:10], v[160:161], v[9:10]
	v_mul_f64_e32 v[160:161], s[30:31], v[33:34]
	v_fma_f64 v[162:163], v[49:50], s[8:9], v[160:161]
	s_delay_alu instid0(VALU_DEP_1) | instskip(SKIP_1) | instid1(VALU_DEP_1)
	v_add_f64_e32 v[11:12], v[162:163], v[11:12]
	v_mul_f64_e32 v[162:163], s[18:19], v[13:14]
	v_fma_f64 v[164:165], v[41:42], s[16:17], -v[162:163]
	s_delay_alu instid0(VALU_DEP_1) | instskip(SKIP_1) | instid1(VALU_DEP_1)
	v_add_f64_e32 v[9:10], v[164:165], v[9:10]
	v_mul_f64_e32 v[164:165], s[18:19], v[31:32]
	;; [unrolled: 8-line block ×5, first 2 shown]
	v_fma_f64 v[178:179], v[100:101], s[22:23], v[176:177]
	s_delay_alu instid0(VALU_DEP_1) | instskip(SKIP_1) | instid1(VALU_DEP_1)
	v_add_f64_e32 v[178:179], v[178:179], v[11:12]
	v_fma_f64 v[11:12], v[106:107], s[20:21], -v[180:181]
	v_add_f64_e32 v[11:12], v[11:12], v[9:10]
	v_fma_f64 v[9:10], v[104:105], s[20:21], v[182:183]
	s_delay_alu instid0(VALU_DEP_1) | instskip(SKIP_2) | instid1(VALU_DEP_2)
	v_add_f64_e32 v[9:10], v[9:10], v[178:179]
	v_mul_f64_e32 v[178:179], s[50:51], v[29:30]
	v_mul_f64_e32 v[29:30], s[18:19], v[29:30]
	v_fma_f64 v[188:189], v[45:46], s[22:23], v[178:179]
	v_fma_f64 v[178:179], v[45:46], s[22:23], -v[178:179]
	s_delay_alu instid0(VALU_DEP_3)
	v_fma_f64 v[194:195], v[45:46], s[16:17], -v[29:30]
	v_fma_f64 v[29:30], v[45:46], s[16:17], v[29:30]
	v_fma_f64 v[45:46], v[45:46], s[2:3], v[156:157]
	v_mul_f64_e32 v[156:157], s[50:51], v[35:36]
	v_mul_f64_e32 v[35:36], s[18:19], v[35:36]
	v_add_f64_e32 v[57:58], v[188:189], v[65:66]
	v_add_f64_e32 v[21:22], v[178:179], v[21:22]
	;; [unrolled: 1-line block ×3, first 2 shown]
	v_fma_f64 v[200:201], v[51:52], s[22:23], -v[156:157]
	v_fma_f64 v[156:157], v[51:52], s[22:23], v[156:157]
	v_fma_f64 v[206:207], v[51:52], s[16:17], v[35:36]
	v_fma_f64 v[35:36], v[51:52], s[16:17], -v[35:36]
	v_fma_f64 v[51:52], v[51:52], s[2:3], -v[158:159]
	v_mul_f64_e32 v[158:159], s[42:43], v[17:18]
	v_mul_f64_e32 v[17:18], s[14:15], v[17:18]
	v_add_f64_e32 v[65:66], v[200:201], v[88:89]
	v_add_f64_e32 v[88:89], v[156:157], v[120:121]
	;; [unrolled: 1-line block ×5, first 2 shown]
	v_fma_f64 v[212:213], v[43:44], s[2:3], v[158:159]
	v_fma_f64 v[158:159], v[43:44], s[2:3], -v[158:159]
	v_fma_f64 v[218:219], v[43:44], s[24:25], -v[17:18]
	v_fma_f64 v[17:18], v[43:44], s[24:25], v[17:18]
	v_fma_f64 v[43:44], v[43:44], s[8:9], v[69:70]
	v_mul_f64_e32 v[69:70], s[42:43], v[33:34]
	v_mul_f64_e32 v[33:34], s[14:15], v[33:34]
	v_add_f64_e32 v[35:36], v[45:46], v[130:131]
	v_mul_f64_e32 v[45:46], s[30:31], v[31:32]
	v_mul_f64_e32 v[126:127], s[48:49], v[31:32]
	v_mul_f64_e32 v[31:32], s[34:35], v[31:32]
	v_add_f64_e32 v[51:52], v[51:52], v[132:133]
	v_add_f64_e32 v[114:115], v[206:207], v[114:115]
	v_fma_f64 v[130:131], v[47:48], s[0:1], -v[53:54]
	v_fma_f64 v[53:54], v[47:48], s[0:1], v[53:54]
	v_add_f64_e32 v[55:56], v[212:213], v[57:58]
	v_add_f64_e32 v[21:22], v[158:159], v[21:22]
	;; [unrolled: 1-line block ×3, first 2 shown]
	v_fma_f64 v[224:225], v[49:50], s[2:3], -v[69:70]
	v_fma_f64 v[69:70], v[49:50], s[2:3], v[69:70]
	v_fma_f64 v[230:231], v[49:50], s[24:25], v[33:34]
	v_fma_f64 v[33:34], v[49:50], s[24:25], -v[33:34]
	v_fma_f64 v[49:50], v[49:50], s[8:9], -v[160:161]
	v_mul_f64_e32 v[160:161], s[40:41], v[13:14]
	v_mul_f64_e32 v[13:14], s[34:35], v[13:14]
	v_fma_f64 v[128:129], v[47:48], s[8:9], -v[45:46]
	v_fma_f64 v[45:46], v[47:48], s[8:9], v[45:46]
	v_fma_f64 v[156:157], v[47:48], s[28:29], v[126:127]
	v_fma_f64 v[126:127], v[47:48], s[28:29], -v[126:127]
	v_add_f64_e32 v[19:20], v[19:20], v[21:22]
	v_add_f64_e32 v[57:58], v[224:225], v[65:66]
	;; [unrolled: 1-line block ×6, first 2 shown]
	v_fma_f64 v[236:237], v[41:42], s[0:1], v[160:161]
	v_fma_f64 v[160:161], v[41:42], s[0:1], -v[160:161]
	v_fma_f64 v[240:241], v[41:42], s[20:21], -v[13:14]
	v_fma_f64 v[13:14], v[41:42], s[20:21], v[13:14]
	v_fma_f64 v[41:42], v[41:42], s[16:17], v[162:163]
	;; [unrolled: 1-line block ×3, first 2 shown]
	v_fma_f64 v[31:32], v[47:48], s[20:21], -v[31:32]
	v_mul_f64_e32 v[33:34], s[34:35], v[144:145]
	v_add_f64_e32 v[120:121], v[220:221], v[122:123]
	v_mul_f64_e32 v[35:36], s[30:31], v[144:145]
	v_add_f64_e32 v[69:70], v[226:227], v[90:91]
	v_add_f64_e32 v[90:91], v[218:219], v[124:125]
	;; [unrolled: 1-line block ×4, first 2 shown]
	v_mul_f64_e32 v[43:44], s[42:43], v[144:145]
	v_fma_f64 v[47:48], v[47:48], s[16:17], -v[164:165]
	v_add_f64_e32 v[114:115], v[230:231], v[114:115]
	v_fma_f64 v[144:145], v[39:40], s[22:23], -v[59:60]
	v_fma_f64 v[59:60], v[39:40], s[22:23], v[59:60]
	v_add_f64_e32 v[55:56], v[128:129], v[57:58]
	v_add_f64_e32 v[21:22], v[45:46], v[65:66]
	;; [unrolled: 1-line block ×9, first 2 shown]
	v_fma_f64 v[29:30], v[92:93], s[16:17], v[118:119]
	v_fma_f64 v[122:123], v[39:40], s[20:21], v[33:34]
	v_fma_f64 v[33:34], v[39:40], s[20:21], -v[33:34]
	v_fma_f64 v[124:125], v[39:40], s[8:9], v[35:36]
	v_fma_f64 v[35:36], v[39:40], s[8:9], -v[35:36]
	v_add_f64_e32 v[57:58], v[130:131], v[69:70]
	v_fma_f64 v[132:133], v[39:40], s[2:3], -v[43:44]
	v_fma_f64 v[43:44], v[39:40], s[2:3], v[43:44]
	v_fma_f64 v[39:40], v[39:40], s[28:29], v[166:167]
	v_add_f64_e32 v[65:66], v[240:241], v[90:91]
	v_add_f64_e32 v[69:70], v[156:157], v[94:95]
	v_add_f64_e32 v[53:54], v[53:54], v[120:121]
	v_mul_f64_e32 v[90:91], s[50:51], v[110:111]
	v_add_f64_e32 v[67:68], v[162:163], v[114:115]
	v_add_f64_e32 v[47:48], v[47:48], v[49:50]
	v_fma_f64 v[120:121], v[106:107], s[20:21], v[180:181]
	v_add_f64_e32 v[13:14], v[59:60], v[13:14]
	v_mul_f64_e32 v[59:60], s[48:49], v[142:143]
	v_add_f64_e32 v[29:30], v[29:30], v[37:38]
	v_mul_f64_e32 v[37:38], s[34:35], v[110:111]
	v_add_f64_e32 v[19:20], v[33:34], v[19:20]
	v_add_f64_e32 v[31:32], v[122:123], v[51:52]
	;; [unrolled: 1-line block ×6, first 2 shown]
	v_mul_f64_e32 v[39:40], s[12:13], v[108:109]
	v_fma_f64 v[114:115], v[92:93], s[22:23], v[90:91]
	v_fma_f64 v[90:91], v[92:93], s[22:23], -v[90:91]
	v_fma_f64 v[41:42], v[92:93], s[20:21], -v[37:38]
	v_fma_f64 v[33:34], v[92:93], s[20:21], v[37:38]
	v_fma_f64 v[37:38], v[98:99], s[2:3], -v[134:135]
	v_add_f64_e32 v[61:62], v[114:115], v[67:68]
	v_add_f64_e32 v[17:18], v[90:91], v[17:18]
	v_fma_f64 v[67:68], v[98:99], s[28:29], -v[59:60]
	v_fma_f64 v[59:60], v[98:99], s[28:29], v[59:60]
	v_mul_f64_e32 v[90:91], s[48:49], v[108:109]
	v_add_f64_e32 v[41:42], v[41:42], v[55:56]
	v_add_f64_e32 v[21:22], v[33:34], v[21:22]
	;; [unrolled: 1-line block ×3, first 2 shown]
	v_fma_f64 v[37:38], v[96:97], s[2:3], v[146:147]
	v_add_f64_e32 v[33:34], v[124:125], v[45:46]
	v_fma_f64 v[124:125], v[104:105], s[20:21], -v[182:183]
	v_add_f64_e32 v[13:14], v[59:60], v[13:14]
	v_mul_f64_e32 v[59:60], s[44:45], v[140:141]
	v_add_f64_e32 v[29:30], v[37:38], v[29:30]
	v_mul_f64_e32 v[37:38], s[52:53], v[142:143]
	s_delay_alu instid0(VALU_DEP_1) | instskip(SKIP_1) | instid1(VALU_DEP_2)
	v_fma_f64 v[45:46], v[98:99], s[16:17], v[37:38]
	v_fma_f64 v[37:38], v[98:99], s[16:17], -v[37:38]
	v_add_f64_e32 v[31:32], v[45:46], v[31:32]
	v_mul_f64_e32 v[45:46], s[52:53], v[108:109]
	s_delay_alu instid0(VALU_DEP_3) | instskip(NEXT) | instid1(VALU_DEP_2)
	v_add_f64_e32 v[19:20], v[37:38], v[19:20]
	v_fma_f64 v[37:38], v[96:97], s[16:17], v[45:46]
	v_fma_f64 v[51:52], v[96:97], s[16:17], -v[45:46]
	s_delay_alu instid0(VALU_DEP_2) | instskip(SKIP_1) | instid1(VALU_DEP_3)
	v_add_f64_e32 v[21:22], v[37:38], v[21:22]
	v_mul_f64_e32 v[37:38], s[12:13], v[142:143]
	v_add_f64_e32 v[41:42], v[51:52], v[41:42]
	s_delay_alu instid0(VALU_DEP_2) | instskip(SKIP_1) | instid1(VALU_DEP_2)
	v_fma_f64 v[45:46], v[98:99], s[22:23], v[37:38]
	v_fma_f64 v[37:38], v[98:99], s[22:23], -v[37:38]
	v_add_f64_e32 v[33:34], v[45:46], v[33:34]
	v_fma_f64 v[45:46], v[102:103], s[20:21], -v[148:149]
	s_delay_alu instid0(VALU_DEP_3) | instskip(NEXT) | instid1(VALU_DEP_2)
	v_add_f64_e32 v[23:24], v[37:38], v[23:24]
	v_add_f64_e32 v[15:16], v[45:46], v[15:16]
	v_fma_f64 v[45:46], v[100:101], s[20:21], v[150:151]
	s_delay_alu instid0(VALU_DEP_1) | instskip(SKIP_1) | instid1(VALU_DEP_1)
	v_add_f64_e32 v[29:30], v[45:46], v[29:30]
	v_mul_f64_e32 v[45:46], s[26:27], v[140:141]
	v_fma_f64 v[51:52], v[102:103], s[0:1], v[45:46]
	v_fma_f64 v[45:46], v[102:103], s[0:1], -v[45:46]
	s_delay_alu instid0(VALU_DEP_2) | instskip(SKIP_1) | instid1(VALU_DEP_3)
	v_add_f64_e32 v[31:32], v[51:52], v[31:32]
	v_mul_f64_e32 v[51:52], s[26:27], v[112:113]
	v_add_f64_e32 v[19:20], v[45:46], v[19:20]
	s_delay_alu instid0(VALU_DEP_2) | instskip(SKIP_1) | instid1(VALU_DEP_2)
	v_fma_f64 v[55:56], v[100:101], s[0:1], -v[51:52]
	v_fma_f64 v[51:52], v[100:101], s[0:1], v[51:52]
	v_add_f64_e32 v[41:42], v[55:56], v[41:42]
	v_mul_f64_e32 v[55:56], s[30:31], v[110:111]
	v_fma_f64 v[110:111], v[92:93], s[2:3], v[63:64]
	v_fma_f64 v[63:64], v[92:93], s[2:3], -v[63:64]
	v_add_f64_e32 v[21:22], v[51:52], v[21:22]
	v_mul_f64_e32 v[51:52], s[42:43], v[136:137]
	v_fma_f64 v[94:95], v[92:93], s[8:9], -v[55:56]
	v_fma_f64 v[55:56], v[92:93], s[8:9], v[55:56]
	v_fma_f64 v[92:93], v[92:93], s[28:29], -v[168:169]
	v_add_f64_e32 v[43:44], v[63:64], v[88:89]
	v_mul_f64_e32 v[88:89], s[26:27], v[108:109]
	v_fma_f64 v[108:109], v[96:97], s[28:29], v[90:91]
	v_fma_f64 v[90:91], v[96:97], s[28:29], -v[90:91]
	v_add_f64_e32 v[49:50], v[94:95], v[57:58]
	v_add_f64_e32 v[57:58], v[144:145], v[65:66]
	;; [unrolled: 1-line block ×4, first 2 shown]
	v_mul_f64_e32 v[55:56], s[26:27], v[142:143]
	v_fma_f64 v[69:70], v[98:99], s[24:25], v[170:171]
	v_fma_f64 v[94:95], v[96:97], s[22:23], -v[39:40]
	v_fma_f64 v[39:40], v[96:97], s[22:23], v[39:40]
	v_add_f64_e32 v[47:48], v[92:93], v[47:48]
	v_mul_f64_e32 v[92:93], s[44:45], v[112:113]
	v_add_f64_e32 v[17:18], v[90:91], v[17:18]
	v_mul_f64_e32 v[90:91], s[18:19], v[112:113]
	v_fma_f64 v[110:111], v[106:107], s[2:3], v[51:52]
	v_fma_f64 v[51:52], v[106:107], s[2:3], -v[51:52]
	v_add_f64_e32 v[37:38], v[67:68], v[57:58]
	v_add_f64_e32 v[57:58], v[108:109], v[61:62]
	v_fma_f64 v[67:68], v[102:103], s[8:9], -v[59:60]
	v_fma_f64 v[63:64], v[98:99], s[0:1], -v[55:56]
	v_fma_f64 v[55:56], v[98:99], s[0:1], v[55:56]
	v_add_f64_e32 v[27:28], v[69:70], v[27:28]
	v_mul_f64_e32 v[69:70], s[46:47], v[112:113]
	v_fma_f64 v[98:99], v[96:97], s[0:1], v[88:89]
	v_fma_f64 v[88:89], v[96:97], s[0:1], -v[88:89]
	v_add_f64_e32 v[49:50], v[94:95], v[49:50]
	v_add_f64_e32 v[39:40], v[39:40], v[53:54]
	v_mul_f64_e32 v[53:54], s[46:47], v[140:141]
	v_fma_f64 v[59:60], v[102:103], s[8:9], v[59:60]
	v_fma_f64 v[96:97], v[96:97], s[24:25], -v[172:173]
	v_fma_f64 v[108:109], v[104:105], s[8:9], v[154:155]
	v_add_f64_e32 v[37:38], v[67:68], v[37:38]
	v_add_f64_e32 v[35:36], v[63:64], v[35:36]
	v_add_f64_e32 v[25:26], v[55:56], v[25:26]
	v_mul_f64_e32 v[55:56], s[18:19], v[140:141]
	v_fma_f64 v[94:95], v[100:101], s[24:25], -v[69:70]
	v_add_f64_e32 v[61:62], v[98:99], v[65:66]
	v_add_f64_e32 v[43:44], v[88:89], v[43:44]
	v_fma_f64 v[88:89], v[102:103], s[22:23], v[174:175]
	v_fma_f64 v[69:70], v[100:101], s[24:25], v[69:70]
	v_fma_f64 v[63:64], v[102:103], s[24:25], v[53:54]
	v_fma_f64 v[53:54], v[102:103], s[24:25], -v[53:54]
	v_fma_f64 v[98:99], v[100:101], s[16:17], v[90:91]
	v_mul_f64_e32 v[67:68], s[42:43], v[138:139]
	v_fma_f64 v[90:91], v[100:101], s[16:17], -v[90:91]
	v_add_f64_e32 v[47:48], v[96:97], v[47:48]
	v_fma_f64 v[96:97], v[106:107], s[8:9], -v[152:153]
	v_add_f64_e32 v[59:60], v[59:60], v[13:14]
	v_fma_f64 v[65:66], v[102:103], s[16:17], -v[55:56]
	v_fma_f64 v[55:56], v[102:103], s[16:17], v[55:56]
	v_fma_f64 v[102:103], v[100:101], s[8:9], v[92:93]
	v_fma_f64 v[92:93], v[100:101], s[8:9], -v[92:93]
	v_add_f64_e32 v[45:46], v[94:95], v[49:50]
	v_mul_f64_e32 v[94:95], s[40:41], v[138:139]
	v_add_f64_e32 v[33:34], v[63:64], v[33:34]
	v_add_f64_e32 v[23:24], v[53:54], v[23:24]
	v_mul_f64_e32 v[49:50], s[14:15], v[136:137]
	v_mul_f64_e32 v[53:54], s[12:13], v[136:137]
	v_mul_f64_e32 v[63:64], s[40:41], v[136:137]
	v_add_f64_e32 v[39:40], v[69:70], v[39:40]
	v_mul_f64_e32 v[69:70], s[12:13], v[138:139]
	v_fma_f64 v[100:101], v[100:101], s[22:23], -v[176:177]
	v_add_f64_e32 v[61:62], v[98:99], v[61:62]
	v_add_f64_e32 v[27:28], v[88:89], v[27:28]
	v_fma_f64 v[114:115], v[104:105], s[2:3], -v[67:68]
	v_fma_f64 v[67:68], v[104:105], s[2:3], v[67:68]
	v_add_f64_e32 v[43:44], v[90:91], v[43:44]
	v_add_f64_e32 v[15:16], v[96:97], v[15:16]
	;; [unrolled: 1-line block ×3, first 2 shown]
	v_mul_f64_e32 v[65:66], s[14:15], v[138:139]
	v_add_f64_e32 v[57:58], v[102:103], v[57:58]
	v_add_f64_e32 v[17:18], v[92:93], v[17:18]
	v_add_f64_e32 v[25:26], v[55:56], v[25:26]
	v_fma_f64 v[116:117], v[104:105], s[0:1], -v[94:95]
	v_add_f64_e32 v[110:111], v[110:111], v[33:34]
	v_fma_f64 v[55:56], v[106:107], s[24:25], v[49:50]
	v_fma_f64 v[49:50], v[106:107], s[24:25], -v[49:50]
	v_fma_f64 v[13:14], v[106:107], s[22:23], -v[53:54]
	;; [unrolled: 1-line block ×3, first 2 shown]
	v_fma_f64 v[53:54], v[106:107], s[22:23], v[53:54]
	v_fma_f64 v[63:64], v[106:107], s[0:1], v[63:64]
	;; [unrolled: 1-line block ×4, first 2 shown]
	v_fma_f64 v[69:70], v[104:105], s[22:23], -v[69:70]
	v_add_f64_e32 v[47:48], v[100:101], v[47:48]
	v_add_f64_e32 v[94:95], v[51:52], v[23:24]
	;; [unrolled: 1-line block ×3, first 2 shown]
	v_fma_f64 v[112:113], v[104:105], s[24:25], -v[65:66]
	v_fma_f64 v[65:66], v[104:105], s[24:25], v[65:66]
	v_add_f64_e32 v[116:117], v[116:117], v[17:18]
	scratch_load_b32 v17, off, off offset:1708 th:TH_LOAD_LU ; 4-byte Folded Reload
	v_add_f64_e32 v[90:91], v[49:50], v[19:20]
	v_add_f64_e32 v[98:99], v[13:14], v[35:36]
	;; [unrolled: 1-line block ×15, first 2 shown]
	s_wait_loadcnt 0x0
	v_mul_u32_u24_e32 v17, 17, v17
	s_delay_alu instid0(VALU_DEP_1)
	v_lshlrev_b32_e32 v17, 4, v17
	ds_store_b128 v17, v[76:79]
	ds_store_b128 v17, v[9:12] offset:16
	ds_store_b128 v17, v[100:103] offset:32
	;; [unrolled: 1-line block ×16, first 2 shown]
.LBB0_13:
	s_wait_alu 0xfffe
	s_or_b32 exec_lo, exec_lo, s33
	global_wb scope:SCOPE_SE
	s_wait_dscnt 0x0
	s_barrier_signal -1
	s_barrier_wait -1
	global_inv scope:SCOPE_SE
	s_clause 0x5
	scratch_load_b128 v[7:10], off, off offset:60 th:TH_LOAD_LU
	scratch_load_b128 v[27:30], off, off offset:76 th:TH_LOAD_LU
	;; [unrolled: 1-line block ×6, first 2 shown]
	ds_load_b128 v[1:4], v254 offset:8976
	s_clause 0x3
	scratch_load_b128 v[35:38], off, off offset:420 th:TH_LOAD_LU
	scratch_load_b128 v[39:42], off, off offset:404 th:TH_LOAD_LU
	;; [unrolled: 1-line block ×4, first 2 shown]
	s_mov_b32 s0, 0xe8584caa
	s_mov_b32 s1, 0xbfebb67a
	;; [unrolled: 1-line block ×3, first 2 shown]
	s_wait_alu 0xfffe
	s_mov_b32 s2, s0
	s_mov_b32 s16, 0xf8bb580b
	;; [unrolled: 1-line block ×22, first 2 shown]
	s_wait_alu 0xfffe
	s_mov_b32 s30, s16
	s_mov_b32 s35, 0x3fed1bb4
	;; [unrolled: 1-line block ×9, first 2 shown]
	s_wait_loadcnt_dscnt 0x900
	v_mul_f64_e32 v[5:6], v[9:10], v[3:4]
	s_delay_alu instid0(VALU_DEP_1) | instskip(SKIP_1) | instid1(VALU_DEP_1)
	v_fma_f64 v[5:6], v[7:8], v[1:2], v[5:6]
	v_mul_f64_e32 v[1:2], v[9:10], v[1:2]
	v_fma_f64 v[7:8], v[7:8], v[3:4], -v[1:2]
	ds_load_b128 v[1:4], v254 offset:17952
	s_wait_loadcnt_dscnt 0x700
	v_mul_f64_e32 v[9:10], v[13:14], v[3:4]
	s_delay_alu instid0(VALU_DEP_1) | instskip(SKIP_1) | instid1(VALU_DEP_1)
	v_fma_f64 v[9:10], v[11:12], v[1:2], v[9:10]
	v_mul_f64_e32 v[1:2], v[13:14], v[1:2]
	v_fma_f64 v[11:12], v[11:12], v[3:4], -v[1:2]
	ds_load_b128 v[1:4], v254 offset:9792
	s_wait_loadcnt_dscnt 0x500
	v_mul_f64_e32 v[13:14], v[21:22], v[3:4]
	v_add_f64_e32 v[15:16], v[7:8], v[11:12]
	s_delay_alu instid0(VALU_DEP_2) | instskip(SKIP_1) | instid1(VALU_DEP_1)
	v_fma_f64 v[17:18], v[19:20], v[1:2], v[13:14]
	v_mul_f64_e32 v[1:2], v[21:22], v[1:2]
	v_fma_f64 v[19:20], v[19:20], v[3:4], -v[1:2]
	ds_load_b128 v[1:4], v254 offset:18768
	s_wait_loadcnt_dscnt 0x400
	v_mul_f64_e32 v[13:14], v[25:26], v[3:4]
	s_delay_alu instid0(VALU_DEP_1) | instskip(SKIP_1) | instid1(VALU_DEP_1)
	v_fma_f64 v[21:22], v[23:24], v[1:2], v[13:14]
	v_mul_f64_e32 v[1:2], v[25:26], v[1:2]
	v_fma_f64 v[23:24], v[23:24], v[3:4], -v[1:2]
	ds_load_b128 v[1:4], v254 offset:10608
	s_wait_dscnt 0x0
	v_mul_f64_e32 v[13:14], v[29:30], v[3:4]
	s_delay_alu instid0(VALU_DEP_1) | instskip(SKIP_1) | instid1(VALU_DEP_1)
	v_fma_f64 v[25:26], v[27:28], v[1:2], v[13:14]
	v_mul_f64_e32 v[1:2], v[29:30], v[1:2]
	v_fma_f64 v[27:28], v[27:28], v[3:4], -v[1:2]
	ds_load_b128 v[1:4], v254 offset:19584
	s_wait_dscnt 0x0
	v_mul_f64_e32 v[13:14], v[33:34], v[3:4]
	s_delay_alu instid0(VALU_DEP_1) | instskip(SKIP_1) | instid1(VALU_DEP_1)
	v_fma_f64 v[29:30], v[31:32], v[1:2], v[13:14]
	v_mul_f64_e32 v[1:2], v[33:34], v[1:2]
	v_fma_f64 v[31:32], v[31:32], v[3:4], -v[1:2]
	ds_load_b128 v[1:4], v254 offset:11424
	s_wait_loadcnt_dscnt 0x300
	v_mul_f64_e32 v[13:14], v[37:38], v[3:4]
	s_delay_alu instid0(VALU_DEP_1) | instskip(SKIP_1) | instid1(VALU_DEP_1)
	v_fma_f64 v[33:34], v[35:36], v[1:2], v[13:14]
	v_mul_f64_e32 v[1:2], v[37:38], v[1:2]
	v_fma_f64 v[35:36], v[35:36], v[3:4], -v[1:2]
	ds_load_b128 v[1:4], v254 offset:20400
	s_wait_loadcnt_dscnt 0x200
	;; [unrolled: 7-line block ×4, first 2 shown]
	v_mul_f64_e32 v[13:14], v[49:50], v[3:4]
	s_delay_alu instid0(VALU_DEP_1)
	v_fma_f64 v[45:46], v[47:48], v[1:2], v[13:14]
	v_mul_f64_e32 v[1:2], v[49:50], v[1:2]
	scratch_load_b128 v[49:52], off, off offset:468 th:TH_LOAD_LU ; 16-byte Folded Reload
	v_fma_f64 v[47:48], v[47:48], v[3:4], -v[1:2]
	ds_load_b128 v[1:4], v254 offset:13056
	s_wait_loadcnt_dscnt 0x0
	v_mul_f64_e32 v[13:14], v[51:52], v[3:4]
	s_delay_alu instid0(VALU_DEP_1) | instskip(SKIP_1) | instid1(VALU_DEP_1)
	v_fma_f64 v[120:121], v[49:50], v[1:2], v[13:14]
	v_mul_f64_e32 v[1:2], v[51:52], v[1:2]
	v_fma_f64 v[122:123], v[49:50], v[3:4], -v[1:2]
	scratch_load_b128 v[49:52], off, off offset:484 th:TH_LOAD_LU ; 16-byte Folded Reload
	ds_load_b128 v[1:4], v254 offset:22032
	s_wait_loadcnt_dscnt 0x0
	v_mul_f64_e32 v[13:14], v[51:52], v[3:4]
	s_delay_alu instid0(VALU_DEP_1) | instskip(SKIP_1) | instid1(VALU_DEP_1)
	v_fma_f64 v[124:125], v[49:50], v[1:2], v[13:14]
	v_mul_f64_e32 v[1:2], v[51:52], v[1:2]
	v_fma_f64 v[126:127], v[49:50], v[3:4], -v[1:2]
	scratch_load_b128 v[49:52], off, off offset:500 th:TH_LOAD_LU ; 16-byte Folded Reload
	;; [unrolled: 8-line block ×11, first 2 shown]
	ds_load_b128 v[1:4], v254 offset:26112
	s_wait_loadcnt_dscnt 0x0
	v_mul_f64_e32 v[13:14], v[51:52], v[3:4]
	s_delay_alu instid0(VALU_DEP_1) | instskip(SKIP_2) | instid1(VALU_DEP_2)
	v_fma_f64 v[84:85], v[49:50], v[1:2], v[13:14]
	v_mul_f64_e32 v[1:2], v[51:52], v[1:2]
	v_add_f64_e32 v[13:14], v[5:6], v[9:10]
	v_fma_f64 v[86:87], v[49:50], v[3:4], -v[1:2]
	ds_load_b128 v[1:4], v254
	s_wait_dscnt 0x0
	v_fma_f64 v[15:16], v[15:16], -0.5, v[3:4]
	v_add_f64_e32 v[3:4], v[3:4], v[7:8]
	v_fma_f64 v[13:14], v[13:14], -0.5, v[1:2]
	v_add_f64_e32 v[1:2], v[1:2], v[5:6]
	v_add_f64_e64 v[7:8], v[7:8], -v[11:12]
	s_delay_alu instid0(VALU_DEP_4) | instskip(SKIP_1) | instid1(VALU_DEP_4)
	v_add_f64_e32 v[3:4], v[3:4], v[11:12]
	v_add_f64_e64 v[11:12], v[5:6], -v[9:10]
	v_add_f64_e32 v[1:2], v[1:2], v[9:10]
	s_delay_alu instid0(VALU_DEP_4) | instskip(SKIP_1) | instid1(VALU_DEP_4)
	v_fma_f64 v[5:6], v[7:8], s[0:1], v[13:14]
	v_fma_f64 v[9:10], v[7:8], s[2:3], v[13:14]
	;; [unrolled: 1-line block ×4, first 2 shown]
	ds_load_b128 v[72:75], v254 offset:8160
	ds_load_b128 v[13:16], v254 offset:816
	ds_load_b128 v[128:131], v254 offset:1632
	ds_load_b128 v[132:135], v254 offset:2448
	ds_load_b128 v[136:139], v254 offset:3264
	ds_load_b128 v[140:143], v254 offset:4080
	ds_load_b128 v[144:147], v254 offset:4896
	ds_load_b128 v[148:151], v254 offset:5712
	ds_load_b128 v[152:155], v254 offset:6528
	ds_load_b128 v[76:79], v254 offset:7344
	global_wb scope:SCOPE_SE
	s_wait_dscnt 0x0
	s_barrier_signal -1
	s_barrier_wait -1
	global_inv scope:SCOPE_SE
	scratch_load_b32 v49, off, off offset:1352 th:TH_LOAD_LU ; 4-byte Folded Reload
	s_wait_loadcnt 0x0
	ds_store_b128 v49, v[1:4]
	ds_store_b128 v49, v[5:8] offset:272
	ds_store_b128 v49, v[9:12] offset:544
	v_add_f64_e32 v[1:2], v[17:18], v[21:22]
	v_add_f64_e32 v[5:6], v[13:14], v[17:18]
	v_add_f64_e64 v[9:10], v[19:20], -v[23:24]
	s_delay_alu instid0(VALU_DEP_3) | instskip(SKIP_2) | instid1(VALU_DEP_2)
	v_fma_f64 v[7:8], v[1:2], -0.5, v[13:14]
	v_add_f64_e32 v[1:2], v[19:20], v[23:24]
	v_add_f64_e64 v[13:14], v[17:18], -v[21:22]
	v_fma_f64 v[11:12], v[1:2], -0.5, v[15:16]
	v_add_f64_e32 v[1:2], v[15:16], v[19:20]
	s_delay_alu instid0(VALU_DEP_1)
	v_add_f64_e32 v[3:4], v[1:2], v[23:24]
	v_add_f64_e32 v[1:2], v[5:6], v[21:22]
	v_fma_f64 v[5:6], v[9:10], s[0:1], v[7:8]
	v_fma_f64 v[9:10], v[9:10], s[2:3], v[7:8]
	v_fma_f64 v[7:8], v[13:14], s[2:3], v[11:12]
	v_fma_f64 v[11:12], v[13:14], s[0:1], v[11:12]
	scratch_load_b32 v13, off, off offset:1372 th:TH_LOAD_LU ; 4-byte Folded Reload
	s_wait_loadcnt 0x0
	ds_store_b128 v13, v[1:4]
	ds_store_b128 v13, v[5:8] offset:272
	ds_store_b128 v13, v[9:12] offset:544
	v_add_f64_e32 v[1:2], v[25:26], v[29:30]
	v_add_f64_e32 v[5:6], v[128:129], v[25:26]
	v_add_f64_e64 v[9:10], v[27:28], -v[31:32]
	v_add_f64_e64 v[13:14], v[25:26], -v[29:30]
	s_delay_alu instid0(VALU_DEP_4) | instskip(SKIP_1) | instid1(VALU_DEP_1)
	v_fma_f64 v[7:8], v[1:2], -0.5, v[128:129]
	v_add_f64_e32 v[1:2], v[27:28], v[31:32]
	v_fma_f64 v[11:12], v[1:2], -0.5, v[130:131]
	v_add_f64_e32 v[1:2], v[130:131], v[27:28]
	s_delay_alu instid0(VALU_DEP_1)
	v_add_f64_e32 v[3:4], v[1:2], v[31:32]
	v_add_f64_e32 v[1:2], v[5:6], v[29:30]
	v_fma_f64 v[5:6], v[9:10], s[0:1], v[7:8]
	v_fma_f64 v[9:10], v[9:10], s[2:3], v[7:8]
	v_fma_f64 v[7:8], v[13:14], s[2:3], v[11:12]
	v_fma_f64 v[11:12], v[13:14], s[0:1], v[11:12]
	scratch_load_b32 v13, off, off offset:1368 th:TH_LOAD_LU ; 4-byte Folded Reload
	s_wait_loadcnt 0x0
	ds_store_b128 v13, v[1:4]
	ds_store_b128 v13, v[5:8] offset:272
	ds_store_b128 v13, v[9:12] offset:544
	v_add_f64_e32 v[1:2], v[33:34], v[37:38]
	v_add_f64_e32 v[5:6], v[132:133], v[33:34]
	v_add_f64_e64 v[9:10], v[35:36], -v[39:40]
	v_add_f64_e64 v[13:14], v[33:34], -v[37:38]
	s_delay_alu instid0(VALU_DEP_4) | instskip(SKIP_1) | instid1(VALU_DEP_1)
	v_fma_f64 v[7:8], v[1:2], -0.5, v[132:133]
	v_add_f64_e32 v[1:2], v[35:36], v[39:40]
	;; [unrolled: 21-line block ×9, first 2 shown]
	v_fma_f64 v[11:12], v[1:2], -0.5, v[74:75]
	v_add_f64_e32 v[1:2], v[74:75], v[82:83]
	s_delay_alu instid0(VALU_DEP_1)
	v_add_f64_e32 v[3:4], v[1:2], v[86:87]
	v_add_f64_e32 v[1:2], v[5:6], v[84:85]
	v_fma_f64 v[5:6], v[9:10], s[0:1], v[7:8]
	v_fma_f64 v[9:10], v[9:10], s[2:3], v[7:8]
	;; [unrolled: 1-line block ×4, first 2 shown]
	scratch_load_b32 v13, off, off offset:980 th:TH_LOAD_LU ; 4-byte Folded Reload
	s_wait_loadcnt 0x0
	ds_store_b128 v13, v[1:4]
	ds_store_b128 v13, v[5:8] offset:272
	ds_store_b128 v13, v[9:12] offset:544
	global_wb scope:SCOPE_SE
	s_wait_dscnt 0x0
	s_barrier_signal -1
	s_barrier_wait -1
	global_inv scope:SCOPE_SE
	s_clause 0x1
	scratch_load_b128 v[11:14], off, off offset:660 th:TH_LOAD_LU
	scratch_load_b128 v[23:26], off, off offset:676 th:TH_LOAD_LU
	ds_load_b128 v[1:4], v254 offset:2448
	s_clause 0x1
	scratch_load_b128 v[15:18], off, off offset:708 th:TH_LOAD_LU
	scratch_load_b128 v[19:22], off, off offset:692 th:TH_LOAD_LU
	s_wait_loadcnt_dscnt 0x300
	v_mul_f64_e32 v[5:6], v[13:14], v[3:4]
	s_delay_alu instid0(VALU_DEP_1) | instskip(SKIP_1) | instid1(VALU_DEP_1)
	v_fma_f64 v[5:6], v[11:12], v[1:2], v[5:6]
	v_mul_f64_e32 v[1:2], v[13:14], v[1:2]
	v_fma_f64 v[7:8], v[11:12], v[3:4], -v[1:2]
	ds_load_b128 v[1:4], v254 offset:3264
	s_wait_dscnt 0x0
	v_mul_f64_e32 v[9:10], v[13:14], v[3:4]
	s_delay_alu instid0(VALU_DEP_1) | instskip(SKIP_1) | instid1(VALU_DEP_1)
	v_fma_f64 v[152:153], v[11:12], v[1:2], v[9:10]
	v_mul_f64_e32 v[1:2], v[13:14], v[1:2]
	v_fma_f64 v[154:155], v[11:12], v[3:4], -v[1:2]
	scratch_load_b128 v[11:14], off, off offset:788 th:TH_LOAD_LU ; 16-byte Folded Reload
	ds_load_b128 v[1:4], v254 offset:4896
	s_wait_loadcnt_dscnt 0x0
	v_mul_f64_e32 v[9:10], v[13:14], v[3:4]
	s_delay_alu instid0(VALU_DEP_1) | instskip(SKIP_1) | instid1(VALU_DEP_1)
	v_fma_f64 v[80:81], v[11:12], v[1:2], v[9:10]
	v_mul_f64_e32 v[1:2], v[13:14], v[1:2]
	v_fma_f64 v[82:83], v[11:12], v[3:4], -v[1:2]
	ds_load_b128 v[1:4], v254 offset:5712
	s_wait_dscnt 0x0
	v_mul_f64_e32 v[9:10], v[13:14], v[3:4]
	s_delay_alu instid0(VALU_DEP_1) | instskip(SKIP_1) | instid1(VALU_DEP_1)
	v_fma_f64 v[140:141], v[11:12], v[1:2], v[9:10]
	v_mul_f64_e32 v[1:2], v[13:14], v[1:2]
	v_fma_f64 v[142:143], v[11:12], v[3:4], -v[1:2]
	scratch_load_b128 v[11:14], off, off offset:756 th:TH_LOAD_LU ; 16-byte Folded Reload
	ds_load_b128 v[1:4], v254 offset:7344
	;; [unrolled: 15-line block ×5, first 2 shown]
	s_wait_loadcnt_dscnt 0x0
	v_mul_f64_e32 v[9:10], v[13:14], v[3:4]
	s_delay_alu instid0(VALU_DEP_1) | instskip(SKIP_1) | instid1(VALU_DEP_2)
	v_fma_f64 v[96:97], v[11:12], v[1:2], v[9:10]
	v_mul_f64_e32 v[1:2], v[13:14], v[1:2]
	v_add_f64_e32 v[204:205], v[92:93], v[96:97]
	s_delay_alu instid0(VALU_DEP_2)
	v_fma_f64 v[98:99], v[11:12], v[3:4], -v[1:2]
	ds_load_b128 v[1:4], v254 offset:15504
	v_add_f64_e64 v[208:209], v[92:93], -v[96:97]
	s_wait_dscnt 0x0
	v_mul_f64_e32 v[9:10], v[13:14], v[3:4]
	v_add_f64_e64 v[162:163], v[94:95], -v[98:99]
	s_delay_alu instid0(VALU_DEP_2) | instskip(SKIP_1) | instid1(VALU_DEP_3)
	v_fma_f64 v[124:125], v[11:12], v[1:2], v[9:10]
	v_mul_f64_e32 v[1:2], v[13:14], v[1:2]
	v_mul_f64_e32 v[206:207], s[20:21], v[162:163]
	s_delay_alu instid0(VALU_DEP_2) | instskip(SKIP_4) | instid1(VALU_DEP_1)
	v_fma_f64 v[126:127], v[11:12], v[3:4], -v[1:2]
	scratch_load_b128 v[11:14], off, off offset:740 th:TH_LOAD_LU ; 16-byte Folded Reload
	ds_load_b128 v[1:4], v254 offset:17136
	s_wait_loadcnt_dscnt 0x0
	v_mul_f64_e32 v[9:10], v[13:14], v[3:4]
	v_fma_f64 v[100:101], v[11:12], v[1:2], v[9:10]
	v_mul_f64_e32 v[1:2], v[13:14], v[1:2]
	s_delay_alu instid0(VALU_DEP_2) | instskip(NEXT) | instid1(VALU_DEP_2)
	v_add_f64_e32 v[116:117], v[88:89], v[100:101]
	v_fma_f64 v[102:103], v[11:12], v[3:4], -v[1:2]
	ds_load_b128 v[1:4], v254 offset:17952
	v_add_f64_e64 v[160:161], v[88:89], -v[100:101]
	s_wait_dscnt 0x0
	v_mul_f64_e32 v[9:10], v[13:14], v[3:4]
	v_add_f64_e64 v[110:111], v[90:91], -v[102:103]
	v_add_f64_e32 v[118:119], v[90:91], v[102:103]
	s_delay_alu instid0(VALU_DEP_3) | instskip(SKIP_1) | instid1(VALU_DEP_4)
	v_fma_f64 v[132:133], v[11:12], v[1:2], v[9:10]
	v_mul_f64_e32 v[1:2], v[13:14], v[1:2]
	v_mul_f64_e32 v[104:105], s[18:19], v[110:111]
	s_delay_alu instid0(VALU_DEP_4) | instskip(NEXT) | instid1(VALU_DEP_3)
	v_mul_f64_e32 v[106:107], s[26:27], v[118:119]
	v_fma_f64 v[134:135], v[11:12], v[3:4], -v[1:2]
	ds_load_b128 v[1:4], v254 offset:19584
	s_wait_dscnt 0x0
	v_mul_f64_e32 v[9:10], v[17:18], v[3:4]
	s_delay_alu instid0(VALU_DEP_1) | instskip(SKIP_1) | instid1(VALU_DEP_2)
	v_fma_f64 v[9:10], v[15:16], v[1:2], v[9:10]
	v_mul_f64_e32 v[1:2], v[17:18], v[1:2]
	v_add_f64_e32 v[112:113], v[84:85], v[9:10]
	s_delay_alu instid0(VALU_DEP_2)
	v_fma_f64 v[11:12], v[15:16], v[3:4], -v[1:2]
	ds_load_b128 v[1:4], v254 offset:20400
	v_add_f64_e64 v[114:115], v[84:85], -v[9:10]
	s_wait_dscnt 0x0
	v_mul_f64_e32 v[13:14], v[17:18], v[3:4]
	v_add_f64_e32 v[108:109], v[86:87], v[11:12]
	s_delay_alu instid0(VALU_DEP_2) | instskip(SKIP_1) | instid1(VALU_DEP_1)
	v_fma_f64 v[144:145], v[15:16], v[1:2], v[13:14]
	v_mul_f64_e32 v[1:2], v[17:18], v[1:2]
	v_fma_f64 v[146:147], v[15:16], v[3:4], -v[1:2]
	ds_load_b128 v[1:4], v254 offset:22032
	s_wait_dscnt 0x0
	v_mul_f64_e32 v[13:14], v[21:22], v[3:4]
	s_delay_alu instid0(VALU_DEP_1) | instskip(SKIP_1) | instid1(VALU_DEP_2)
	v_fma_f64 v[13:14], v[19:20], v[1:2], v[13:14]
	v_mul_f64_e32 v[1:2], v[21:22], v[1:2]
	v_add_f64_e64 v[65:66], v[80:81], -v[13:14]
	s_delay_alu instid0(VALU_DEP_2) | instskip(SKIP_3) | instid1(VALU_DEP_1)
	v_fma_f64 v[15:16], v[19:20], v[3:4], -v[1:2]
	ds_load_b128 v[1:4], v254 offset:22848
	s_wait_dscnt 0x0
	v_mul_f64_e32 v[17:18], v[21:22], v[3:4]
	v_fma_f64 v[148:149], v[19:20], v[1:2], v[17:18]
	v_mul_f64_e32 v[1:2], v[21:22], v[1:2]
	s_delay_alu instid0(VALU_DEP_1) | instskip(SKIP_3) | instid1(VALU_DEP_1)
	v_fma_f64 v[150:151], v[19:20], v[3:4], -v[1:2]
	ds_load_b128 v[1:4], v254 offset:24480
	s_wait_dscnt 0x0
	v_mul_f64_e32 v[17:18], v[25:26], v[3:4]
	v_fma_f64 v[17:18], v[23:24], v[1:2], v[17:18]
	v_mul_f64_e32 v[1:2], v[25:26], v[1:2]
	s_delay_alu instid0(VALU_DEP_2) | instskip(NEXT) | instid1(VALU_DEP_2)
	v_add_f64_e32 v[27:28], v[5:6], v[17:18]
	v_fma_f64 v[19:20], v[23:24], v[3:4], -v[1:2]
	ds_load_b128 v[1:4], v254 offset:25296
	v_add_f64_e64 v[47:48], v[5:6], -v[17:18]
	s_wait_dscnt 0x0
	v_mul_f64_e32 v[21:22], v[25:26], v[3:4]
	s_delay_alu instid0(VALU_DEP_1) | instskip(SKIP_1) | instid1(VALU_DEP_1)
	v_fma_f64 v[156:157], v[23:24], v[1:2], v[21:22]
	v_mul_f64_e32 v[1:2], v[25:26], v[1:2]
	v_fma_f64 v[158:159], v[23:24], v[3:4], -v[1:2]
	scratch_load_b128 v[23:26], off, off offset:820 th:TH_LOAD_LU ; 16-byte Folded Reload
	ds_load_b128 v[1:4], v254 offset:4080
	s_wait_loadcnt_dscnt 0x0
	v_mul_f64_e32 v[21:22], v[25:26], v[3:4]
	s_delay_alu instid0(VALU_DEP_1) | instskip(SKIP_1) | instid1(VALU_DEP_1)
	v_fma_f64 v[196:197], v[23:24], v[1:2], v[21:22]
	v_mul_f64_e32 v[1:2], v[25:26], v[1:2]
	v_fma_f64 v[198:199], v[23:24], v[3:4], -v[1:2]
	scratch_load_b128 v[23:26], off, off offset:836 th:TH_LOAD_LU ; 16-byte Folded Reload
	ds_load_b128 v[1:4], v254 offset:6528
	s_wait_loadcnt_dscnt 0x0
	;; [unrolled: 8-line block ×10, first 2 shown]
	v_mul_f64_e32 v[21:22], v[25:26], v[3:4]
	s_delay_alu instid0(VALU_DEP_1) | instskip(SKIP_1) | instid1(VALU_DEP_1)
	v_fma_f64 v[200:201], v[23:24], v[1:2], v[21:22]
	v_mul_f64_e32 v[1:2], v[25:26], v[1:2]
	v_fma_f64 v[202:203], v[23:24], v[3:4], -v[1:2]
	v_add_f64_e64 v[1:2], v[7:8], -v[19:20]
	s_delay_alu instid0(VALU_DEP_1)
	v_mul_f64_e32 v[3:4], s[16:17], v[1:2]
	v_mul_f64_e32 v[21:22], s[8:9], v[1:2]
	;; [unrolled: 1-line block ×5, first 2 shown]
	v_fma_f64 v[29:30], v[27:28], s[12:13], v[3:4]
	v_fma_f64 v[31:32], v[27:28], s[12:13], -v[3:4]
	v_fma_f64 v[33:34], v[27:28], s[28:29], v[21:22]
	v_fma_f64 v[21:22], v[27:28], s[28:29], -v[21:22]
	v_fma_f64 v[35:36], v[27:28], s[24:25], v[23:24]
	v_fma_f64 v[23:24], v[27:28], s[24:25], -v[23:24]
	v_fma_f64 v[37:38], v[27:28], s[26:27], v[25:26]
	v_fma_f64 v[25:26], v[27:28], s[26:27], -v[25:26]
	v_fma_f64 v[39:40], v[27:28], s[22:23], v[1:2]
	v_fma_f64 v[27:28], v[27:28], s[22:23], -v[1:2]
	v_add_f64_e32 v[1:2], v[7:8], v[19:20]
	s_delay_alu instid0(VALU_DEP_1)
	v_mul_f64_e32 v[3:4], s[12:13], v[1:2]
	v_mul_f64_e32 v[41:42], s[28:29], v[1:2]
	;; [unrolled: 1-line block ×5, first 2 shown]
	s_wait_alu 0xfffe
	v_fma_f64 v[49:50], v[47:48], s[30:31], v[3:4]
	v_fma_f64 v[51:52], v[47:48], s[16:17], v[3:4]
	;; [unrolled: 1-line block ×10, first 2 shown]
	ds_load_b128 v[1:4], v254
	s_wait_dscnt 0x0
	v_add_f64_e32 v[5:6], v[1:2], v[5:6]
	v_add_f64_e32 v[29:30], v[1:2], v[29:30]
	;; [unrolled: 1-line block ×11, first 2 shown]
	v_add_f64_e64 v[27:28], v[82:83], -v[15:16]
	v_add_f64_e32 v[7:8], v[3:4], v[7:8]
	v_add_f64_e32 v[49:50], v[3:4], v[49:50]
	;; [unrolled: 1-line block ×13, first 2 shown]
	v_mul_f64_e32 v[61:62], s[8:9], v[27:28]
	v_add_f64_e32 v[7:8], v[7:8], v[82:83]
	s_delay_alu instid0(VALU_DEP_3) | instskip(NEXT) | instid1(VALU_DEP_3)
	v_add_f64_e32 v[5:6], v[5:6], v[84:85]
	v_fma_f64 v[63:64], v[47:48], s[28:29], v[61:62]
	s_delay_alu instid0(VALU_DEP_3) | instskip(NEXT) | instid1(VALU_DEP_3)
	v_add_f64_e32 v[7:8], v[7:8], v[86:87]
	v_add_f64_e32 v[5:6], v[5:6], v[88:89]
	s_delay_alu instid0(VALU_DEP_3) | instskip(SKIP_1) | instid1(VALU_DEP_4)
	v_add_f64_e32 v[29:30], v[63:64], v[29:30]
	v_add_f64_e32 v[63:64], v[82:83], v[15:16]
	;; [unrolled: 1-line block ×3, first 2 shown]
	s_delay_alu instid0(VALU_DEP_4) | instskip(NEXT) | instid1(VALU_DEP_3)
	v_add_f64_e32 v[5:6], v[5:6], v[92:93]
	v_mul_f64_e32 v[67:68], s[28:29], v[63:64]
	s_delay_alu instid0(VALU_DEP_3) | instskip(NEXT) | instid1(VALU_DEP_3)
	v_add_f64_e32 v[7:8], v[7:8], v[94:95]
	v_add_f64_e32 v[5:6], v[5:6], v[96:97]
	s_delay_alu instid0(VALU_DEP_3) | instskip(NEXT) | instid1(VALU_DEP_3)
	v_fma_f64 v[69:70], v[65:66], s[34:35], v[67:68]
	v_add_f64_e32 v[7:8], v[7:8], v[98:99]
	s_delay_alu instid0(VALU_DEP_3) | instskip(NEXT) | instid1(VALU_DEP_3)
	v_add_f64_e32 v[5:6], v[5:6], v[100:101]
	v_add_f64_e32 v[49:50], v[69:70], v[49:50]
	v_add_f64_e64 v[69:70], v[86:87], -v[11:12]
	s_delay_alu instid0(VALU_DEP_4) | instskip(NEXT) | instid1(VALU_DEP_4)
	v_add_f64_e32 v[7:8], v[7:8], v[102:103]
	v_add_f64_e32 v[5:6], v[5:6], v[9:10]
	v_mul_f64_e32 v[9:10], s[26:27], v[63:64]
	s_delay_alu instid0(VALU_DEP_4) | instskip(NEXT) | instid1(VALU_DEP_4)
	v_mul_f64_e32 v[71:72], s[14:15], v[69:70]
	v_add_f64_e32 v[7:8], v[7:8], v[11:12]
	s_delay_alu instid0(VALU_DEP_4)
	v_add_f64_e32 v[5:6], v[5:6], v[13:14]
	v_mul_f64_e32 v[13:14], s[40:41], v[69:70]
	v_fma_f64 v[11:12], v[65:66], s[38:39], v[9:10]
	v_fma_f64 v[9:10], v[65:66], s[18:19], v[9:10]
	;; [unrolled: 1-line block ×3, first 2 shown]
	v_add_f64_e32 v[7:8], v[7:8], v[15:16]
	v_add_f64_e32 v[80:81], v[5:6], v[17:18]
	v_mul_f64_e32 v[5:6], s[18:19], v[27:28]
	v_fma_f64 v[15:16], v[112:113], s[22:23], v[13:14]
	v_add_f64_e32 v[11:12], v[11:12], v[53:54]
	v_add_f64_e32 v[9:10], v[9:10], v[41:42]
	;; [unrolled: 1-line block ×3, first 2 shown]
	v_mul_f64_e32 v[73:74], s[24:25], v[108:109]
	v_add_f64_e32 v[82:83], v[7:8], v[19:20]
	v_fma_f64 v[7:8], v[47:48], s[26:27], v[5:6]
	v_fma_f64 v[5:6], v[47:48], s[26:27], -v[5:6]
	s_delay_alu instid0(VALU_DEP_4) | instskip(NEXT) | instid1(VALU_DEP_3)
	v_fma_f64 v[75:76], v[114:115], s[36:37], v[73:74]
	v_add_f64_e32 v[7:8], v[7:8], v[33:34]
	s_delay_alu instid0(VALU_DEP_3) | instskip(NEXT) | instid1(VALU_DEP_3)
	v_add_f64_e32 v[5:6], v[5:6], v[21:22]
	v_add_f64_e32 v[49:50], v[75:76], v[49:50]
	v_fma_f64 v[75:76], v[116:117], s[26:27], v[104:105]
	s_delay_alu instid0(VALU_DEP_4) | instskip(SKIP_1) | instid1(VALU_DEP_3)
	v_add_f64_e32 v[7:8], v[15:16], v[7:8]
	v_mul_f64_e32 v[15:16], s[22:23], v[108:109]
	v_add_f64_e32 v[29:30], v[75:76], v[29:30]
	v_fma_f64 v[75:76], v[160:161], s[38:39], v[106:107]
	s_delay_alu instid0(VALU_DEP_3) | instskip(NEXT) | instid1(VALU_DEP_2)
	v_fma_f64 v[17:18], v[114:115], s[20:21], v[15:16]
	v_add_f64_e32 v[49:50], v[75:76], v[49:50]
	v_fma_f64 v[75:76], v[204:205], s[22:23], v[206:207]
	s_delay_alu instid0(VALU_DEP_3) | instskip(SKIP_1) | instid1(VALU_DEP_3)
	v_add_f64_e32 v[11:12], v[17:18], v[11:12]
	v_mul_f64_e32 v[17:18], s[36:37], v[110:111]
	v_add_f64_e32 v[76:77], v[75:76], v[29:30]
	v_add_f64_e32 v[29:30], v[94:95], v[98:99]
	s_delay_alu instid0(VALU_DEP_3) | instskip(NEXT) | instid1(VALU_DEP_2)
	v_fma_f64 v[19:20], v[116:117], s[24:25], v[17:18]
	v_mul_f64_e32 v[210:211], s[22:23], v[29:30]
	s_delay_alu instid0(VALU_DEP_2) | instskip(SKIP_1) | instid1(VALU_DEP_3)
	v_add_f64_e32 v[7:8], v[19:20], v[7:8]
	v_mul_f64_e32 v[19:20], s[24:25], v[118:119]
	v_fma_f64 v[78:79], v[208:209], s[40:41], v[210:211]
	s_delay_alu instid0(VALU_DEP_1) | instskip(SKIP_2) | instid1(VALU_DEP_2)
	v_add_f64_e32 v[78:79], v[78:79], v[49:50]
	v_fma_f64 v[49:50], v[47:48], s[28:29], -v[61:62]
	v_fma_f64 v[61:62], v[208:209], s[20:21], v[210:211]
	v_add_f64_e32 v[31:32], v[49:50], v[31:32]
	v_fma_f64 v[49:50], v[65:66], s[8:9], v[67:68]
	v_add_f64_e32 v[67:68], v[130:131], v[134:135]
	s_delay_alu instid0(VALU_DEP_2) | instskip(SKIP_1) | instid1(VALU_DEP_1)
	v_add_f64_e32 v[49:50], v[49:50], v[51:52]
	v_fma_f64 v[51:52], v[112:113], s[24:25], -v[71:72]
	v_add_f64_e32 v[31:32], v[51:52], v[31:32]
	v_fma_f64 v[51:52], v[114:115], s[14:15], v[73:74]
	s_delay_alu instid0(VALU_DEP_1) | instskip(SKIP_1) | instid1(VALU_DEP_1)
	v_add_f64_e32 v[49:50], v[51:52], v[49:50]
	v_fma_f64 v[51:52], v[116:117], s[26:27], -v[104:105]
	v_add_f64_e32 v[31:32], v[51:52], v[31:32]
	v_fma_f64 v[51:52], v[160:161], s[18:19], v[106:107]
	s_delay_alu instid0(VALU_DEP_1) | instskip(SKIP_1) | instid1(VALU_DEP_2)
	v_add_f64_e32 v[49:50], v[51:52], v[49:50]
	v_fma_f64 v[51:52], v[204:205], s[22:23], -v[206:207]
	v_add_f64_e32 v[74:75], v[61:62], v[49:50]
	s_delay_alu instid0(VALU_DEP_2) | instskip(SKIP_1) | instid1(VALU_DEP_1)
	v_add_f64_e32 v[72:73], v[51:52], v[31:32]
	v_fma_f64 v[31:32], v[160:161], s[14:15], v[19:20]
	v_add_f64_e32 v[11:12], v[31:32], v[11:12]
	v_mul_f64_e32 v[31:32], s[30:31], v[162:163]
	s_delay_alu instid0(VALU_DEP_1) | instskip(NEXT) | instid1(VALU_DEP_1)
	v_fma_f64 v[33:34], v[204:205], s[12:13], v[31:32]
	v_add_f64_e32 v[88:89], v[33:34], v[7:8]
	v_mul_f64_e32 v[7:8], s[12:13], v[29:30]
	s_delay_alu instid0(VALU_DEP_1) | instskip(SKIP_1) | instid1(VALU_DEP_2)
	v_fma_f64 v[33:34], v[208:209], s[16:17], v[7:8]
	v_fma_f64 v[7:8], v[208:209], s[30:31], v[7:8]
	v_add_f64_e32 v[90:91], v[33:34], v[11:12]
	v_fma_f64 v[11:12], v[112:113], s[22:23], -v[13:14]
	v_mul_f64_e32 v[13:14], s[34:35], v[69:70]
	s_delay_alu instid0(VALU_DEP_2) | instskip(SKIP_1) | instid1(VALU_DEP_3)
	v_add_f64_e32 v[5:6], v[11:12], v[5:6]
	v_fma_f64 v[11:12], v[114:115], s[40:41], v[15:16]
	v_fma_f64 v[15:16], v[112:113], s[28:29], v[13:14]
	s_delay_alu instid0(VALU_DEP_2) | instskip(SKIP_1) | instid1(VALU_DEP_1)
	v_add_f64_e32 v[9:10], v[11:12], v[9:10]
	v_fma_f64 v[11:12], v[116:117], s[24:25], -v[17:18]
	v_add_f64_e32 v[5:6], v[11:12], v[5:6]
	v_fma_f64 v[11:12], v[160:161], s[36:37], v[19:20]
	s_delay_alu instid0(VALU_DEP_1) | instskip(SKIP_1) | instid1(VALU_DEP_2)
	v_add_f64_e32 v[9:10], v[11:12], v[9:10]
	v_fma_f64 v[11:12], v[204:205], s[12:13], -v[31:32]
	v_add_f64_e32 v[86:87], v[7:8], v[9:10]
	s_delay_alu instid0(VALU_DEP_2) | instskip(SKIP_2) | instid1(VALU_DEP_2)
	v_add_f64_e32 v[84:85], v[11:12], v[5:6]
	v_mul_f64_e32 v[5:6], s[40:41], v[27:28]
	v_mul_f64_e32 v[9:10], s[22:23], v[63:64]
	v_fma_f64 v[7:8], v[47:48], s[22:23], v[5:6]
	s_delay_alu instid0(VALU_DEP_2) | instskip(SKIP_2) | instid1(VALU_DEP_4)
	v_fma_f64 v[11:12], v[65:66], s[20:21], v[9:10]
	v_fma_f64 v[5:6], v[47:48], s[22:23], -v[5:6]
	v_fma_f64 v[9:10], v[65:66], s[40:41], v[9:10]
	v_add_f64_e32 v[7:8], v[7:8], v[35:36]
	s_delay_alu instid0(VALU_DEP_4) | instskip(NEXT) | instid1(VALU_DEP_4)
	v_add_f64_e32 v[11:12], v[11:12], v[55:56]
	v_add_f64_e32 v[5:6], v[5:6], v[23:24]
	s_delay_alu instid0(VALU_DEP_4) | instskip(SKIP_3) | instid1(VALU_DEP_1)
	v_add_f64_e32 v[9:10], v[9:10], v[43:44]
	v_add_f64_e32 v[55:56], v[138:139], v[146:147]
	;; [unrolled: 1-line block ×3, first 2 shown]
	v_mul_f64_e32 v[15:16], s[28:29], v[108:109]
	v_fma_f64 v[17:18], v[114:115], s[8:9], v[15:16]
	s_delay_alu instid0(VALU_DEP_1) | instskip(SKIP_1) | instid1(VALU_DEP_1)
	v_add_f64_e32 v[11:12], v[17:18], v[11:12]
	v_mul_f64_e32 v[17:18], s[16:17], v[110:111]
	v_fma_f64 v[19:20], v[116:117], s[12:13], v[17:18]
	s_delay_alu instid0(VALU_DEP_1) | instskip(SKIP_1) | instid1(VALU_DEP_1)
	v_add_f64_e32 v[7:8], v[19:20], v[7:8]
	;; [unrolled: 4-line block ×4, first 2 shown]
	v_mul_f64_e32 v[7:8], s[26:27], v[29:30]
	v_fma_f64 v[31:32], v[208:209], s[38:39], v[7:8]
	v_fma_f64 v[7:8], v[208:209], s[18:19], v[7:8]
	s_delay_alu instid0(VALU_DEP_2) | instskip(SKIP_2) | instid1(VALU_DEP_2)
	v_add_f64_e32 v[98:99], v[31:32], v[11:12]
	v_fma_f64 v[11:12], v[112:113], s[28:29], -v[13:14]
	v_mul_f64_e32 v[13:14], s[16:17], v[69:70]
	v_add_f64_e32 v[5:6], v[11:12], v[5:6]
	v_fma_f64 v[11:12], v[114:115], s[34:35], v[15:16]
	s_delay_alu instid0(VALU_DEP_3) | instskip(NEXT) | instid1(VALU_DEP_2)
	v_fma_f64 v[15:16], v[112:113], s[12:13], v[13:14]
	v_add_f64_e32 v[9:10], v[11:12], v[9:10]
	v_fma_f64 v[11:12], v[116:117], s[12:13], -v[17:18]
	s_delay_alu instid0(VALU_DEP_1) | instskip(SKIP_1) | instid1(VALU_DEP_1)
	v_add_f64_e32 v[5:6], v[11:12], v[5:6]
	v_fma_f64 v[11:12], v[160:161], s[16:17], v[19:20]
	v_add_f64_e32 v[9:10], v[11:12], v[9:10]
	v_fma_f64 v[11:12], v[204:205], s[26:27], -v[21:22]
	s_delay_alu instid0(VALU_DEP_2) | instskip(NEXT) | instid1(VALU_DEP_2)
	v_add_f64_e32 v[94:95], v[7:8], v[9:10]
	v_add_f64_e32 v[92:93], v[11:12], v[5:6]
	v_mul_f64_e32 v[5:6], s[36:37], v[27:28]
	v_mul_f64_e32 v[9:10], s[24:25], v[63:64]
	s_delay_alu instid0(VALU_DEP_2) | instskip(NEXT) | instid1(VALU_DEP_2)
	v_fma_f64 v[7:8], v[47:48], s[24:25], v[5:6]
	v_fma_f64 v[11:12], v[65:66], s[14:15], v[9:10]
	v_fma_f64 v[5:6], v[47:48], s[24:25], -v[5:6]
	v_fma_f64 v[9:10], v[65:66], s[36:37], v[9:10]
	s_delay_alu instid0(VALU_DEP_4) | instskip(NEXT) | instid1(VALU_DEP_4)
	v_add_f64_e32 v[7:8], v[7:8], v[37:38]
	v_add_f64_e32 v[11:12], v[11:12], v[57:58]
	s_delay_alu instid0(VALU_DEP_4) | instskip(NEXT) | instid1(VALU_DEP_4)
	v_add_f64_e32 v[5:6], v[5:6], v[25:26]
	v_add_f64_e32 v[9:10], v[9:10], v[45:46]
	;; [unrolled: 1-line block ×4, first 2 shown]
	v_mul_f64_e32 v[15:16], s[12:13], v[108:109]
	s_delay_alu instid0(VALU_DEP_1) | instskip(NEXT) | instid1(VALU_DEP_1)
	v_fma_f64 v[17:18], v[114:115], s[30:31], v[15:16]
	v_add_f64_e32 v[11:12], v[17:18], v[11:12]
	v_mul_f64_e32 v[17:18], s[20:21], v[110:111]
	s_delay_alu instid0(VALU_DEP_1) | instskip(NEXT) | instid1(VALU_DEP_1)
	v_fma_f64 v[19:20], v[116:117], s[22:23], v[17:18]
	v_add_f64_e32 v[7:8], v[19:20], v[7:8]
	;; [unrolled: 4-line block ×4, first 2 shown]
	v_mul_f64_e32 v[7:8], s[28:29], v[29:30]
	s_delay_alu instid0(VALU_DEP_1) | instskip(SKIP_1) | instid1(VALU_DEP_2)
	v_fma_f64 v[23:24], v[208:209], s[8:9], v[7:8]
	v_fma_f64 v[7:8], v[208:209], s[34:35], v[7:8]
	v_add_f64_e32 v[102:103], v[23:24], v[11:12]
	v_fma_f64 v[11:12], v[112:113], s[12:13], -v[13:14]
	v_mul_f64_e32 v[13:14], s[18:19], v[69:70]
	v_mul_f64_e32 v[23:24], s[24:25], v[29:30]
	v_add_f64_e32 v[69:70], v[128:129], v[132:133]
	s_delay_alu instid0(VALU_DEP_4) | instskip(SKIP_2) | instid1(VALU_DEP_2)
	v_add_f64_e32 v[5:6], v[11:12], v[5:6]
	v_fma_f64 v[11:12], v[114:115], s[16:17], v[15:16]
	v_fma_f64 v[15:16], v[112:113], s[26:27], v[13:14]
	v_add_f64_e32 v[9:10], v[11:12], v[9:10]
	v_fma_f64 v[11:12], v[116:117], s[22:23], -v[17:18]
	s_delay_alu instid0(VALU_DEP_1) | instskip(SKIP_1) | instid1(VALU_DEP_1)
	v_add_f64_e32 v[5:6], v[11:12], v[5:6]
	v_fma_f64 v[11:12], v[160:161], s[20:21], v[19:20]
	v_add_f64_e32 v[9:10], v[11:12], v[9:10]
	v_fma_f64 v[11:12], v[204:205], s[28:29], -v[21:22]
	s_delay_alu instid0(VALU_DEP_2) | instskip(NEXT) | instid1(VALU_DEP_2)
	v_add_f64_e32 v[106:107], v[7:8], v[9:10]
	v_add_f64_e32 v[104:105], v[11:12], v[5:6]
	v_mul_f64_e32 v[5:6], s[30:31], v[27:28]
	v_mul_f64_e32 v[9:10], s[12:13], v[63:64]
	s_delay_alu instid0(VALU_DEP_2) | instskip(NEXT) | instid1(VALU_DEP_2)
	v_fma_f64 v[7:8], v[47:48], s[12:13], v[5:6]
	v_fma_f64 v[11:12], v[65:66], s[16:17], v[9:10]
	v_fma_f64 v[5:6], v[47:48], s[12:13], -v[5:6]
	v_add_f64_e64 v[47:48], v[140:141], -v[148:149]
	s_delay_alu instid0(VALU_DEP_4) | instskip(NEXT) | instid1(VALU_DEP_4)
	v_add_f64_e32 v[7:8], v[7:8], v[39:40]
	v_add_f64_e32 v[11:12], v[11:12], v[59:60]
	s_delay_alu instid0(VALU_DEP_4) | instskip(SKIP_4) | instid1(VALU_DEP_4)
	v_add_f64_e32 v[1:2], v[5:6], v[1:2]
	v_fma_f64 v[5:6], v[112:113], s[26:27], -v[13:14]
	v_add_f64_e64 v[59:60], v[136:137], -v[144:145]
	v_add_f64_e32 v[7:8], v[15:16], v[7:8]
	v_mul_f64_e32 v[15:16], s[26:27], v[108:109]
	v_add_f64_e32 v[1:2], v[5:6], v[1:2]
	s_delay_alu instid0(VALU_DEP_2) | instskip(NEXT) | instid1(VALU_DEP_1)
	v_fma_f64 v[17:18], v[114:115], s[38:39], v[15:16]
	v_add_f64_e32 v[11:12], v[17:18], v[11:12]
	v_mul_f64_e32 v[17:18], s[34:35], v[110:111]
	s_delay_alu instid0(VALU_DEP_1) | instskip(SKIP_1) | instid1(VALU_DEP_2)
	v_fma_f64 v[19:20], v[116:117], s[28:29], v[17:18]
	v_fma_f64 v[5:6], v[116:117], s[28:29], -v[17:18]
	v_add_f64_e32 v[7:8], v[19:20], v[7:8]
	v_mul_f64_e32 v[19:20], s[28:29], v[118:119]
	s_delay_alu instid0(VALU_DEP_3) | instskip(NEXT) | instid1(VALU_DEP_2)
	v_add_f64_e32 v[1:2], v[5:6], v[1:2]
	v_fma_f64 v[21:22], v[160:161], s[8:9], v[19:20]
	s_delay_alu instid0(VALU_DEP_1) | instskip(SKIP_1) | instid1(VALU_DEP_1)
	v_add_f64_e32 v[11:12], v[21:22], v[11:12]
	v_mul_f64_e32 v[21:22], s[14:15], v[162:163]
	v_fma_f64 v[25:26], v[204:205], s[24:25], v[21:22]
	v_fma_f64 v[5:6], v[204:205], s[24:25], -v[21:22]
	s_delay_alu instid0(VALU_DEP_2) | instskip(SKIP_1) | instid1(VALU_DEP_3)
	v_add_f64_e32 v[108:109], v[25:26], v[7:8]
	v_fma_f64 v[7:8], v[208:209], s[36:37], v[23:24]
	v_add_f64_e32 v[116:117], v[5:6], v[1:2]
	s_delay_alu instid0(VALU_DEP_2) | instskip(SKIP_3) | instid1(VALU_DEP_3)
	v_add_f64_e32 v[110:111], v[7:8], v[11:12]
	v_fma_f64 v[7:8], v[65:66], s[30:31], v[9:10]
	v_add_f64_e32 v[9:10], v[152:153], v[156:157]
	v_add_f64_e64 v[11:12], v[152:153], -v[156:157]
	v_add_f64_e32 v[3:4], v[7:8], v[3:4]
	v_fma_f64 v[7:8], v[114:115], s[18:19], v[15:16]
	s_delay_alu instid0(VALU_DEP_1) | instskip(SKIP_2) | instid1(VALU_DEP_2)
	v_add_f64_e32 v[3:4], v[7:8], v[3:4]
	v_fma_f64 v[7:8], v[160:161], s[34:35], v[19:20]
	v_add_f64_e64 v[160:161], v[120:121], -v[124:125]
	v_add_f64_e32 v[3:4], v[7:8], v[3:4]
	v_fma_f64 v[7:8], v[208:209], s[14:15], v[23:24]
	s_delay_alu instid0(VALU_DEP_1)
	v_add_f64_e32 v[118:119], v[7:8], v[3:4]
	ds_load_b128 v[1:4], v254 offset:816
	s_wait_dscnt 0x0
	v_add_f64_e32 v[5:6], v[1:2], v[152:153]
	v_add_f64_e32 v[7:8], v[3:4], v[154:155]
	v_add_f64_e64 v[152:153], v[122:123], -v[126:127]
	s_delay_alu instid0(VALU_DEP_3) | instskip(NEXT) | instid1(VALU_DEP_3)
	v_add_f64_e32 v[5:6], v[5:6], v[140:141]
	v_add_f64_e32 v[7:8], v[7:8], v[142:143]
	s_delay_alu instid0(VALU_DEP_2) | instskip(NEXT) | instid1(VALU_DEP_2)
	v_add_f64_e32 v[5:6], v[5:6], v[136:137]
	v_add_f64_e32 v[7:8], v[7:8], v[138:139]
	s_delay_alu instid0(VALU_DEP_2) | instskip(NEXT) | instid1(VALU_DEP_2)
	;; [unrolled: 3-line block ×7, first 2 shown]
	v_add_f64_e32 v[5:6], v[5:6], v[148:149]
	v_add_f64_e32 v[7:8], v[7:8], v[150:151]
	s_delay_alu instid0(VALU_DEP_2) | instskip(SKIP_1) | instid1(VALU_DEP_3)
	v_add_f64_e32 v[112:113], v[5:6], v[156:157]
	v_add_f64_e64 v[5:6], v[154:155], -v[158:159]
	v_add_f64_e32 v[114:115], v[7:8], v[158:159]
	v_add_f64_e32 v[7:8], v[154:155], v[158:159]
	v_add_f64_e64 v[156:157], v[128:129], -v[132:133]
	v_add_f64_e32 v[158:159], v[120:121], v[124:125]
	v_mul_f64_e32 v[120:121], s[20:21], v[152:153]
	v_add_f64_e32 v[154:155], v[122:123], v[126:127]
	v_mul_f64_e32 v[13:14], s[16:17], v[5:6]
	v_mul_f64_e32 v[15:16], s[8:9], v[5:6]
	;; [unrolled: 1-line block ×8, first 2 shown]
	v_fma_f64 v[122:123], v[158:159], s[22:23], v[120:121]
	v_fma_f64 v[21:22], v[9:10], s[12:13], v[13:14]
	v_fma_f64 v[13:14], v[9:10], s[12:13], -v[13:14]
	v_fma_f64 v[23:24], v[9:10], s[28:29], v[15:16]
	v_fma_f64 v[15:16], v[9:10], s[28:29], -v[15:16]
	;; [unrolled: 2-line block ×5, first 2 shown]
	v_mul_f64_e32 v[9:10], s[12:13], v[7:8]
	v_mul_f64_e32 v[7:8], s[22:23], v[7:8]
	v_fma_f64 v[39:40], v[11:12], s[34:35], v[31:32]
	v_fma_f64 v[31:32], v[11:12], s[8:9], v[31:32]
	v_fma_f64 v[41:42], v[11:12], s[36:37], v[33:34]
	v_fma_f64 v[33:34], v[11:12], s[14:15], v[33:34]
	v_fma_f64 v[43:44], v[11:12], s[38:39], v[35:36]
	v_fma_f64 v[35:36], v[11:12], s[18:19], v[35:36]
	v_add_f64_e32 v[13:14], v[1:2], v[13:14]
	v_add_f64_e32 v[23:24], v[1:2], v[23:24]
	;; [unrolled: 1-line block ×8, first 2 shown]
	v_fma_f64 v[37:38], v[11:12], s[30:31], v[9:10]
	v_fma_f64 v[9:10], v[11:12], s[16:17], v[9:10]
	;; [unrolled: 1-line block ×4, first 2 shown]
	v_add_f64_e32 v[11:12], v[1:2], v[21:22]
	v_add_f64_e32 v[1:2], v[1:2], v[5:6]
	v_add_f64_e64 v[5:6], v[142:143], -v[150:151]
	v_add_f64_e32 v[31:32], v[3:4], v[31:32]
	v_add_f64_e32 v[33:34], v[3:4], v[33:34]
	;; [unrolled: 1-line block ×9, first 2 shown]
	v_mul_f64_e32 v[49:50], s[8:9], v[5:6]
	v_add_f64_e32 v[9:10], v[3:4], v[9:10]
	v_add_f64_e32 v[3:4], v[3:4], v[7:8]
	;; [unrolled: 1-line block ×3, first 2 shown]
	s_delay_alu instid0(VALU_DEP_4) | instskip(NEXT) | instid1(VALU_DEP_1)
	v_fma_f64 v[51:52], v[45:46], s[28:29], v[49:50]
	v_add_f64_e32 v[11:12], v[51:52], v[11:12]
	s_delay_alu instid0(VALU_DEP_3) | instskip(NEXT) | instid1(VALU_DEP_1)
	v_mul_f64_e32 v[51:52], s[28:29], v[7:8]
	v_fma_f64 v[53:54], v[47:48], s[34:35], v[51:52]
	s_delay_alu instid0(VALU_DEP_1) | instskip(SKIP_1) | instid1(VALU_DEP_1)
	v_add_f64_e32 v[21:22], v[53:54], v[21:22]
	v_add_f64_e64 v[53:54], v[138:139], -v[146:147]
	v_mul_f64_e32 v[61:62], s[14:15], v[53:54]
	s_delay_alu instid0(VALU_DEP_1) | instskip(NEXT) | instid1(VALU_DEP_1)
	v_fma_f64 v[63:64], v[57:58], s[24:25], v[61:62]
	v_add_f64_e32 v[11:12], v[63:64], v[11:12]
	v_mul_f64_e32 v[63:64], s[24:25], v[55:56]
	s_delay_alu instid0(VALU_DEP_1) | instskip(NEXT) | instid1(VALU_DEP_1)
	v_fma_f64 v[65:66], v[59:60], s[36:37], v[63:64]
	v_add_f64_e32 v[21:22], v[65:66], v[21:22]
	v_add_f64_e64 v[65:66], v[130:131], -v[134:135]
	s_delay_alu instid0(VALU_DEP_1) | instskip(NEXT) | instid1(VALU_DEP_1)
	v_mul_f64_e32 v[128:129], s[18:19], v[65:66]
	v_fma_f64 v[130:131], v[69:70], s[26:27], v[128:129]
	s_delay_alu instid0(VALU_DEP_1) | instskip(SKIP_1) | instid1(VALU_DEP_2)
	v_add_f64_e32 v[11:12], v[130:131], v[11:12]
	v_mul_f64_e32 v[130:131], s[26:27], v[67:68]
	v_add_f64_e32 v[124:125], v[122:123], v[11:12]
	s_delay_alu instid0(VALU_DEP_2) | instskip(SKIP_1) | instid1(VALU_DEP_2)
	v_fma_f64 v[132:133], v[156:157], s[38:39], v[130:131]
	v_mul_f64_e32 v[11:12], s[22:23], v[154:155]
	v_add_f64_e32 v[21:22], v[132:133], v[21:22]
	s_delay_alu instid0(VALU_DEP_2) | instskip(SKIP_1) | instid1(VALU_DEP_2)
	v_fma_f64 v[122:123], v[160:161], s[40:41], v[11:12]
	v_fma_f64 v[11:12], v[160:161], s[20:21], v[11:12]
	v_add_f64_e32 v[126:127], v[122:123], v[21:22]
	v_fma_f64 v[21:22], v[45:46], s[28:29], -v[49:50]
	s_delay_alu instid0(VALU_DEP_1) | instskip(SKIP_1) | instid1(VALU_DEP_1)
	v_add_f64_e32 v[13:14], v[21:22], v[13:14]
	v_fma_f64 v[21:22], v[47:48], s[8:9], v[51:52]
	v_add_f64_e32 v[9:10], v[21:22], v[9:10]
	v_fma_f64 v[21:22], v[57:58], s[24:25], -v[61:62]
	s_delay_alu instid0(VALU_DEP_1) | instskip(SKIP_1) | instid1(VALU_DEP_1)
	v_add_f64_e32 v[13:14], v[21:22], v[13:14]
	;; [unrolled: 5-line block ×3, first 2 shown]
	v_fma_f64 v[21:22], v[156:157], s[18:19], v[130:131]
	v_add_f64_e32 v[9:10], v[21:22], v[9:10]
	v_fma_f64 v[21:22], v[158:159], s[22:23], -v[120:121]
	s_delay_alu instid0(VALU_DEP_2) | instskip(SKIP_1) | instid1(VALU_DEP_3)
	v_add_f64_e32 v[122:123], v[11:12], v[9:10]
	v_mul_f64_e32 v[9:10], s[18:19], v[5:6]
	v_add_f64_e32 v[120:121], v[21:22], v[13:14]
	v_mul_f64_e32 v[13:14], s[26:27], v[7:8]
	s_delay_alu instid0(VALU_DEP_3) | instskip(SKIP_1) | instid1(VALU_DEP_3)
	v_fma_f64 v[11:12], v[45:46], s[26:27], v[9:10]
	v_fma_f64 v[9:10], v[45:46], s[26:27], -v[9:10]
	v_fma_f64 v[21:22], v[47:48], s[38:39], v[13:14]
	v_fma_f64 v[13:14], v[47:48], s[18:19], v[13:14]
	s_delay_alu instid0(VALU_DEP_4) | instskip(SKIP_1) | instid1(VALU_DEP_4)
	v_add_f64_e32 v[11:12], v[11:12], v[23:24]
	v_mul_f64_e32 v[23:24], s[40:41], v[53:54]
	v_add_f64_e32 v[21:22], v[21:22], v[37:38]
	v_add_f64_e32 v[9:10], v[9:10], v[15:16]
	;; [unrolled: 1-line block ×3, first 2 shown]
	s_delay_alu instid0(VALU_DEP_4) | instskip(SKIP_1) | instid1(VALU_DEP_2)
	v_fma_f64 v[37:38], v[57:58], s[22:23], v[23:24]
	v_fma_f64 v[15:16], v[57:58], s[22:23], -v[23:24]
	v_add_f64_e32 v[11:12], v[37:38], v[11:12]
	v_mul_f64_e32 v[37:38], s[22:23], v[55:56]
	s_delay_alu instid0(VALU_DEP_3) | instskip(NEXT) | instid1(VALU_DEP_2)
	v_add_f64_e32 v[9:10], v[15:16], v[9:10]
	v_fma_f64 v[49:50], v[59:60], s[20:21], v[37:38]
	v_fma_f64 v[15:16], v[59:60], s[40:41], v[37:38]
	s_delay_alu instid0(VALU_DEP_2) | instskip(SKIP_1) | instid1(VALU_DEP_3)
	v_add_f64_e32 v[21:22], v[49:50], v[21:22]
	v_mul_f64_e32 v[49:50], s[36:37], v[65:66]
	v_add_f64_e32 v[13:14], v[15:16], v[13:14]
	s_delay_alu instid0(VALU_DEP_2) | instskip(SKIP_2) | instid1(VALU_DEP_3)
	v_fma_f64 v[51:52], v[69:70], s[24:25], v[49:50]
	v_fma_f64 v[15:16], v[69:70], s[24:25], -v[49:50]
	v_add_f64_e64 v[49:50], v[190:191], -v[194:195]
	v_add_f64_e32 v[11:12], v[51:52], v[11:12]
	v_mul_f64_e32 v[51:52], s[24:25], v[67:68]
	s_delay_alu instid0(VALU_DEP_4) | instskip(NEXT) | instid1(VALU_DEP_2)
	v_add_f64_e32 v[9:10], v[15:16], v[9:10]
	v_fma_f64 v[61:62], v[156:157], s[14:15], v[51:52]
	v_fma_f64 v[15:16], v[156:157], s[36:37], v[51:52]
	v_add_f64_e32 v[51:52], v[190:191], v[194:195]
	s_delay_alu instid0(VALU_DEP_3) | instskip(SKIP_1) | instid1(VALU_DEP_4)
	v_add_f64_e32 v[21:22], v[61:62], v[21:22]
	v_mul_f64_e32 v[61:62], s[30:31], v[152:153]
	v_add_f64_e32 v[13:14], v[15:16], v[13:14]
	s_delay_alu instid0(VALU_DEP_2) | instskip(SKIP_2) | instid1(VALU_DEP_3)
	v_fma_f64 v[63:64], v[158:159], s[12:13], v[61:62]
	v_fma_f64 v[15:16], v[158:159], s[12:13], -v[61:62]
	v_add_f64_e32 v[61:62], v[182:183], v[186:187]
	v_add_f64_e32 v[132:133], v[63:64], v[11:12]
	v_mul_f64_e32 v[11:12], s[12:13], v[154:155]
	s_delay_alu instid0(VALU_DEP_4) | instskip(SKIP_1) | instid1(VALU_DEP_3)
	v_add_f64_e32 v[128:129], v[15:16], v[9:10]
	v_mul_f64_e32 v[9:10], s[40:41], v[5:6]
	v_fma_f64 v[63:64], v[160:161], s[16:17], v[11:12]
	v_fma_f64 v[11:12], v[160:161], s[30:31], v[11:12]
	s_delay_alu instid0(VALU_DEP_2) | instskip(NEXT) | instid1(VALU_DEP_2)
	v_add_f64_e32 v[134:135], v[63:64], v[21:22]
	v_add_f64_e32 v[130:131], v[11:12], v[13:14]
	v_fma_f64 v[11:12], v[45:46], s[22:23], v[9:10]
	v_mul_f64_e32 v[21:22], s[34:35], v[53:54]
	v_mul_f64_e32 v[13:14], s[22:23], v[7:8]
	v_fma_f64 v[9:10], v[45:46], s[22:23], -v[9:10]
	v_add_f64_e32 v[63:64], v[180:181], v[184:185]
	v_add_f64_e32 v[11:12], v[11:12], v[25:26]
	v_fma_f64 v[23:24], v[57:58], s[28:29], v[21:22]
	v_fma_f64 v[15:16], v[47:48], s[20:21], v[13:14]
	v_add_f64_e32 v[9:10], v[9:10], v[17:18]
	v_fma_f64 v[13:14], v[47:48], s[40:41], v[13:14]
	v_mul_f64_e32 v[17:18], s[16:17], v[53:54]
	v_add_f64_e32 v[11:12], v[23:24], v[11:12]
	v_mul_f64_e32 v[23:24], s[28:29], v[55:56]
	v_add_f64_e32 v[15:16], v[15:16], v[39:40]
	v_add_f64_e32 v[13:14], v[13:14], v[33:34]
	s_delay_alu instid0(VALU_DEP_3) | instskip(NEXT) | instid1(VALU_DEP_1)
	v_fma_f64 v[25:26], v[59:60], s[8:9], v[23:24]
	v_add_f64_e32 v[15:16], v[25:26], v[15:16]
	v_mul_f64_e32 v[25:26], s[16:17], v[65:66]
	s_delay_alu instid0(VALU_DEP_1) | instskip(NEXT) | instid1(VALU_DEP_1)
	v_fma_f64 v[31:32], v[69:70], s[12:13], v[25:26]
	v_add_f64_e32 v[11:12], v[31:32], v[11:12]
	v_mul_f64_e32 v[31:32], s[12:13], v[67:68]
	s_delay_alu instid0(VALU_DEP_1) | instskip(NEXT) | instid1(VALU_DEP_1)
	;; [unrolled: 4-line block ×3, first 2 shown]
	v_fma_f64 v[39:40], v[158:159], s[26:27], v[37:38]
	v_add_f64_e32 v[140:141], v[39:40], v[11:12]
	v_mul_f64_e32 v[11:12], s[26:27], v[154:155]
	s_delay_alu instid0(VALU_DEP_1) | instskip(SKIP_1) | instid1(VALU_DEP_2)
	v_fma_f64 v[39:40], v[160:161], s[38:39], v[11:12]
	v_fma_f64 v[11:12], v[160:161], s[18:19], v[11:12]
	v_add_f64_e32 v[142:143], v[39:40], v[15:16]
	v_fma_f64 v[15:16], v[57:58], s[28:29], -v[21:22]
	v_fma_f64 v[21:22], v[57:58], s[12:13], v[17:18]
	s_delay_alu instid0(VALU_DEP_2) | instskip(SKIP_1) | instid1(VALU_DEP_1)
	v_add_f64_e32 v[9:10], v[15:16], v[9:10]
	v_fma_f64 v[15:16], v[59:60], s[34:35], v[23:24]
	v_add_f64_e32 v[13:14], v[15:16], v[13:14]
	v_fma_f64 v[15:16], v[69:70], s[12:13], -v[25:26]
	s_delay_alu instid0(VALU_DEP_1) | instskip(SKIP_1) | instid1(VALU_DEP_1)
	v_add_f64_e32 v[9:10], v[15:16], v[9:10]
	v_fma_f64 v[15:16], v[156:157], s[16:17], v[31:32]
	v_add_f64_e32 v[13:14], v[15:16], v[13:14]
	v_fma_f64 v[15:16], v[158:159], s[26:27], -v[37:38]
	s_delay_alu instid0(VALU_DEP_2) | instskip(NEXT) | instid1(VALU_DEP_2)
	v_add_f64_e32 v[138:139], v[11:12], v[13:14]
	v_add_f64_e32 v[136:137], v[15:16], v[9:10]
	v_mul_f64_e32 v[9:10], s[36:37], v[5:6]
	v_mul_f64_e32 v[13:14], s[24:25], v[7:8]
	;; [unrolled: 1-line block ×4, first 2 shown]
	s_delay_alu instid0(VALU_DEP_4) | instskip(NEXT) | instid1(VALU_DEP_4)
	v_fma_f64 v[11:12], v[45:46], s[24:25], v[9:10]
	v_fma_f64 v[15:16], v[47:48], s[14:15], v[13:14]
	v_fma_f64 v[9:10], v[45:46], s[24:25], -v[9:10]
	v_fma_f64 v[13:14], v[47:48], s[36:37], v[13:14]
	s_delay_alu instid0(VALU_DEP_4) | instskip(NEXT) | instid1(VALU_DEP_4)
	v_add_f64_e32 v[11:12], v[11:12], v[27:28]
	v_add_f64_e32 v[15:16], v[15:16], v[41:42]
	s_delay_alu instid0(VALU_DEP_4) | instskip(NEXT) | instid1(VALU_DEP_4)
	v_add_f64_e32 v[9:10], v[9:10], v[19:20]
	v_add_f64_e32 v[13:14], v[13:14], v[35:36]
	s_delay_alu instid0(VALU_DEP_4) | instskip(SKIP_1) | instid1(VALU_DEP_1)
	v_add_f64_e32 v[11:12], v[21:22], v[11:12]
	v_mul_f64_e32 v[21:22], s[12:13], v[55:56]
	v_fma_f64 v[23:24], v[59:60], s[30:31], v[21:22]
	s_delay_alu instid0(VALU_DEP_1) | instskip(SKIP_1) | instid1(VALU_DEP_1)
	v_add_f64_e32 v[15:16], v[23:24], v[15:16]
	v_mul_f64_e32 v[23:24], s[20:21], v[65:66]
	v_fma_f64 v[25:26], v[69:70], s[22:23], v[23:24]
	s_delay_alu instid0(VALU_DEP_1) | instskip(SKIP_1) | instid1(VALU_DEP_1)
	;; [unrolled: 4-line block ×4, first 2 shown]
	v_add_f64_e32 v[144:145], v[31:32], v[11:12]
	v_mul_f64_e32 v[11:12], s[28:29], v[154:155]
	v_fma_f64 v[31:32], v[160:161], s[8:9], v[11:12]
	v_fma_f64 v[11:12], v[160:161], s[34:35], v[11:12]
	s_delay_alu instid0(VALU_DEP_2) | instskip(SKIP_1) | instid1(VALU_DEP_1)
	v_add_f64_e32 v[146:147], v[31:32], v[15:16]
	v_fma_f64 v[15:16], v[57:58], s[12:13], -v[17:18]
	v_add_f64_e32 v[9:10], v[15:16], v[9:10]
	v_fma_f64 v[15:16], v[59:60], s[16:17], v[21:22]
	s_delay_alu instid0(VALU_DEP_1) | instskip(SKIP_2) | instid1(VALU_DEP_2)
	v_add_f64_e32 v[13:14], v[15:16], v[13:14]
	v_fma_f64 v[15:16], v[69:70], s[22:23], -v[23:24]
	v_mul_f64_e32 v[23:24], s[24:25], v[154:155]
	v_add_f64_e32 v[9:10], v[15:16], v[9:10]
	v_fma_f64 v[15:16], v[156:157], s[20:21], v[25:26]
	s_delay_alu instid0(VALU_DEP_1) | instskip(SKIP_1) | instid1(VALU_DEP_2)
	v_add_f64_e32 v[13:14], v[15:16], v[13:14]
	v_fma_f64 v[15:16], v[158:159], s[28:29], -v[27:28]
	v_add_f64_e32 v[150:151], v[11:12], v[13:14]
	s_delay_alu instid0(VALU_DEP_2)
	v_add_f64_e32 v[148:149], v[15:16], v[9:10]
	v_fma_f64 v[9:10], v[45:46], s[12:13], v[5:6]
	v_mul_f64_e32 v[13:14], s[18:19], v[53:54]
	v_fma_f64 v[11:12], v[47:48], s[16:17], v[7:8]
	v_fma_f64 v[5:6], v[45:46], s[12:13], -v[5:6]
	v_fma_f64 v[7:8], v[47:48], s[30:31], v[7:8]
	v_add_f64_e32 v[53:54], v[188:189], v[192:193]
	v_add_f64_e32 v[9:10], v[9:10], v[29:30]
	v_fma_f64 v[15:16], v[57:58], s[26:27], v[13:14]
	v_add_f64_e32 v[11:12], v[11:12], v[43:44]
	v_add_f64_e32 v[1:2], v[5:6], v[1:2]
	;; [unrolled: 1-line block ×3, first 2 shown]
	v_fma_f64 v[5:6], v[57:58], s[26:27], -v[13:14]
	v_mul_f64_e32 v[57:58], s[8:9], v[49:50]
	v_add_f64_e32 v[9:10], v[15:16], v[9:10]
	v_mul_f64_e32 v[15:16], s[26:27], v[55:56]
	v_add_f64_e64 v[55:56], v[188:189], -v[192:193]
	v_add_f64_e32 v[1:2], v[5:6], v[1:2]
	s_delay_alu instid0(VALU_DEP_3) | instskip(SKIP_2) | instid1(VALU_DEP_3)
	v_fma_f64 v[17:18], v[59:60], s[38:39], v[15:16]
	v_fma_f64 v[7:8], v[59:60], s[18:19], v[15:16]
	v_mul_f64_e32 v[59:60], s[28:29], v[51:52]
	v_add_f64_e32 v[11:12], v[17:18], v[11:12]
	v_mul_f64_e32 v[17:18], s[34:35], v[65:66]
	s_delay_alu instid0(VALU_DEP_4) | instskip(SKIP_1) | instid1(VALU_DEP_3)
	v_add_f64_e32 v[3:4], v[7:8], v[3:4]
	v_add_f64_e64 v[65:66], v[180:181], -v[184:185]
	v_fma_f64 v[19:20], v[69:70], s[28:29], v[17:18]
	v_fma_f64 v[5:6], v[69:70], s[28:29], -v[17:18]
	v_mul_f64_e32 v[69:70], s[24:25], v[61:62]
	s_delay_alu instid0(VALU_DEP_3) | instskip(SKIP_1) | instid1(VALU_DEP_4)
	v_add_f64_e32 v[9:10], v[19:20], v[9:10]
	v_mul_f64_e32 v[19:20], s[28:29], v[67:68]
	v_add_f64_e32 v[1:2], v[5:6], v[1:2]
	s_delay_alu instid0(VALU_DEP_2) | instskip(SKIP_1) | instid1(VALU_DEP_2)
	v_fma_f64 v[21:22], v[156:157], s[8:9], v[19:20]
	v_fma_f64 v[7:8], v[156:157], s[34:35], v[19:20]
	v_add_f64_e32 v[11:12], v[21:22], v[11:12]
	v_mul_f64_e32 v[21:22], s[14:15], v[152:153]
	s_delay_alu instid0(VALU_DEP_3) | instskip(SKIP_1) | instid1(VALU_DEP_3)
	v_add_f64_e32 v[3:4], v[7:8], v[3:4]
	v_fma_f64 v[7:8], v[160:161], s[14:15], v[23:24]
	v_fma_f64 v[25:26], v[158:159], s[24:25], v[21:22]
	v_fma_f64 v[5:6], v[158:159], s[24:25], -v[21:22]
	s_delay_alu instid0(VALU_DEP_3) | instskip(NEXT) | instid1(VALU_DEP_3)
	v_add_f64_e32 v[162:163], v[7:8], v[3:4]
	v_add_f64_e32 v[152:153], v[25:26], v[9:10]
	v_fma_f64 v[9:10], v[160:161], s[36:37], v[23:24]
	s_delay_alu instid0(VALU_DEP_4)
	v_add_f64_e32 v[160:161], v[5:6], v[1:2]
	ds_load_b128 v[1:4], v254 offset:1632
	global_wb scope:SCOPE_SE
	s_wait_dscnt 0x0
	s_barrier_signal -1
	s_barrier_wait -1
	global_inv scope:SCOPE_SE
	v_add_f64_e32 v[5:6], v[1:2], v[196:197]
	v_add_f64_e32 v[7:8], v[3:4], v[198:199]
	;; [unrolled: 1-line block ×4, first 2 shown]
	v_add_f64_e64 v[11:12], v[196:197], -v[200:201]
	v_add_f64_e32 v[5:6], v[5:6], v[188:189]
	v_add_f64_e32 v[7:8], v[7:8], v[190:191]
	s_delay_alu instid0(VALU_DEP_2) | instskip(NEXT) | instid1(VALU_DEP_2)
	v_add_f64_e32 v[5:6], v[5:6], v[180:181]
	v_add_f64_e32 v[7:8], v[7:8], v[182:183]
	v_add_f64_e64 v[180:181], v[174:175], -v[178:179]
	s_delay_alu instid0(VALU_DEP_3) | instskip(NEXT) | instid1(VALU_DEP_3)
	v_add_f64_e32 v[5:6], v[5:6], v[172:173]
	v_add_f64_e32 v[7:8], v[7:8], v[174:175]
	s_delay_alu instid0(VALU_DEP_3) | instskip(NEXT) | instid1(VALU_DEP_3)
	v_mul_f64_e32 v[188:189], s[18:19], v[180:181]
	v_add_f64_e32 v[5:6], v[5:6], v[164:165]
	s_delay_alu instid0(VALU_DEP_3) | instskip(NEXT) | instid1(VALU_DEP_2)
	v_add_f64_e32 v[7:8], v[7:8], v[166:167]
	v_add_f64_e32 v[5:6], v[5:6], v[168:169]
	s_delay_alu instid0(VALU_DEP_2) | instskip(NEXT) | instid1(VALU_DEP_2)
	v_add_f64_e32 v[7:8], v[7:8], v[170:171]
	v_add_f64_e32 v[5:6], v[5:6], v[176:177]
	s_delay_alu instid0(VALU_DEP_2) | instskip(SKIP_1) | instid1(VALU_DEP_3)
	v_add_f64_e32 v[7:8], v[7:8], v[178:179]
	v_add_f64_e32 v[178:179], v[174:175], v[178:179]
	;; [unrolled: 1-line block ×3, first 2 shown]
	s_delay_alu instid0(VALU_DEP_3) | instskip(SKIP_1) | instid1(VALU_DEP_4)
	v_add_f64_e32 v[7:8], v[7:8], v[186:187]
	v_add_f64_e32 v[184:185], v[172:173], v[176:177]
	v_mul_f64_e32 v[190:191], s[26:27], v[178:179]
	s_delay_alu instid0(VALU_DEP_4) | instskip(NEXT) | instid1(VALU_DEP_4)
	v_add_f64_e32 v[5:6], v[5:6], v[192:193]
	v_add_f64_e32 v[7:8], v[7:8], v[194:195]
	;; [unrolled: 1-line block ×3, first 2 shown]
	v_add_f64_e64 v[194:195], v[164:165], -v[168:169]
	s_delay_alu instid0(VALU_DEP_4) | instskip(SKIP_3) | instid1(VALU_DEP_3)
	v_add_f64_e32 v[156:157], v[5:6], v[200:201]
	v_add_f64_e64 v[5:6], v[198:199], -v[202:203]
	v_add_f64_e32 v[158:159], v[7:8], v[202:203]
	v_add_f64_e32 v[7:8], v[198:199], v[202:203]
	v_mul_f64_e32 v[13:14], s[16:17], v[5:6]
	v_mul_f64_e32 v[15:16], s[8:9], v[5:6]
	;; [unrolled: 1-line block ×8, first 2 shown]
	v_fma_f64 v[21:22], v[9:10], s[12:13], v[13:14]
	v_fma_f64 v[13:14], v[9:10], s[12:13], -v[13:14]
	v_fma_f64 v[23:24], v[9:10], s[28:29], v[15:16]
	v_fma_f64 v[15:16], v[9:10], s[28:29], -v[15:16]
	;; [unrolled: 2-line block ×5, first 2 shown]
	v_mul_f64_e32 v[9:10], s[12:13], v[7:8]
	v_mul_f64_e32 v[7:8], s[22:23], v[7:8]
	v_fma_f64 v[39:40], v[11:12], s[34:35], v[31:32]
	v_fma_f64 v[31:32], v[11:12], s[8:9], v[31:32]
	;; [unrolled: 1-line block ×6, first 2 shown]
	v_add_f64_e32 v[15:16], v[1:2], v[15:16]
	v_add_f64_e32 v[25:26], v[1:2], v[25:26]
	;; [unrolled: 1-line block ×6, first 2 shown]
	v_fma_f64 v[37:38], v[11:12], s[30:31], v[9:10]
	v_fma_f64 v[9:10], v[11:12], s[16:17], v[9:10]
	;; [unrolled: 1-line block ×4, first 2 shown]
	v_add_f64_e32 v[11:12], v[1:2], v[21:22]
	v_add_f64_e32 v[33:34], v[3:4], v[33:34]
	;; [unrolled: 1-line block ×13, first 2 shown]
	v_fma_f64 v[3:4], v[55:56], s[34:35], v[59:60]
	v_add_f64_e32 v[43:44], v[1:2], v[5:6]
	v_fma_f64 v[1:2], v[53:54], s[28:29], v[57:58]
	s_delay_alu instid0(VALU_DEP_3) | instskip(SKIP_1) | instid1(VALU_DEP_3)
	v_add_f64_e32 v[3:4], v[3:4], v[21:22]
	v_add_f64_e64 v[21:22], v[182:183], -v[186:187]
	v_add_f64_e32 v[1:2], v[1:2], v[11:12]
	v_add_f64_e64 v[186:187], v[172:173], -v[176:177]
	v_add_f64_e64 v[176:177], v[166:167], -v[170:171]
	v_add_f64_e32 v[182:183], v[166:167], v[170:171]
	v_mul_f64_e32 v[11:12], s[18:19], v[49:50]
	v_mul_f64_e32 v[67:68], s[14:15], v[21:22]
	s_delay_alu instid0(VALU_DEP_4) | instskip(NEXT) | instid1(VALU_DEP_4)
	v_mul_f64_e32 v[196:197], s[20:21], v[176:177]
	v_mul_f64_e32 v[198:199], s[22:23], v[182:183]
	s_delay_alu instid0(VALU_DEP_3) | instskip(NEXT) | instid1(VALU_DEP_1)
	v_fma_f64 v[5:6], v[63:64], s[24:25], v[67:68]
	v_add_f64_e32 v[1:2], v[5:6], v[1:2]
	v_fma_f64 v[5:6], v[65:66], s[36:37], v[69:70]
	s_delay_alu instid0(VALU_DEP_1) | instskip(SKIP_1) | instid1(VALU_DEP_1)
	v_add_f64_e32 v[3:4], v[5:6], v[3:4]
	v_fma_f64 v[5:6], v[184:185], s[26:27], v[188:189]
	v_add_f64_e32 v[1:2], v[5:6], v[1:2]
	v_fma_f64 v[5:6], v[186:187], s[38:39], v[190:191]
	s_delay_alu instid0(VALU_DEP_1) | instskip(SKIP_1) | instid1(VALU_DEP_1)
	v_add_f64_e32 v[3:4], v[5:6], v[3:4]
	v_fma_f64 v[5:6], v[192:193], s[22:23], v[196:197]
	v_add_f64_e32 v[1:2], v[5:6], v[1:2]
	v_fma_f64 v[5:6], v[194:195], s[40:41], v[198:199]
	s_delay_alu instid0(VALU_DEP_1) | instskip(SKIP_2) | instid1(VALU_DEP_2)
	v_add_f64_e32 v[3:4], v[5:6], v[3:4]
	v_fma_f64 v[5:6], v[53:54], s[26:27], v[11:12]
	v_fma_f64 v[11:12], v[53:54], s[26:27], -v[11:12]
	v_add_f64_e32 v[5:6], v[5:6], v[9:10]
	v_mul_f64_e32 v[9:10], s[26:27], v[51:52]
	s_delay_alu instid0(VALU_DEP_3) | instskip(NEXT) | instid1(VALU_DEP_2)
	v_add_f64_e32 v[11:12], v[11:12], v[15:16]
	v_fma_f64 v[7:8], v[55:56], s[38:39], v[9:10]
	v_fma_f64 v[9:10], v[55:56], s[18:19], v[9:10]
	s_delay_alu instid0(VALU_DEP_2) | instskip(SKIP_1) | instid1(VALU_DEP_3)
	v_add_f64_e32 v[7:8], v[7:8], v[13:14]
	v_mul_f64_e32 v[13:14], s[40:41], v[21:22]
	v_add_f64_e32 v[9:10], v[9:10], v[23:24]
	v_mul_f64_e32 v[23:24], s[40:41], v[49:50]
	s_delay_alu instid0(VALU_DEP_3) | instskip(SKIP_1) | instid1(VALU_DEP_2)
	v_fma_f64 v[164:165], v[63:64], s[22:23], v[13:14]
	v_fma_f64 v[13:14], v[63:64], s[22:23], -v[13:14]
	v_add_f64_e32 v[5:6], v[164:165], v[5:6]
	v_mul_f64_e32 v[164:165], s[22:23], v[61:62]
	s_delay_alu instid0(VALU_DEP_3) | instskip(NEXT) | instid1(VALU_DEP_2)
	v_add_f64_e32 v[11:12], v[13:14], v[11:12]
	v_fma_f64 v[166:167], v[65:66], s[20:21], v[164:165]
	v_fma_f64 v[13:14], v[65:66], s[40:41], v[164:165]
	s_delay_alu instid0(VALU_DEP_2) | instskip(SKIP_1) | instid1(VALU_DEP_3)
	v_add_f64_e32 v[7:8], v[166:167], v[7:8]
	v_mul_f64_e32 v[166:167], s[36:37], v[180:181]
	v_add_f64_e32 v[9:10], v[13:14], v[9:10]
	s_delay_alu instid0(VALU_DEP_2) | instskip(SKIP_1) | instid1(VALU_DEP_2)
	v_fma_f64 v[168:169], v[184:185], s[24:25], v[166:167]
	v_fma_f64 v[13:14], v[184:185], s[24:25], -v[166:167]
	v_add_f64_e32 v[5:6], v[168:169], v[5:6]
	v_mul_f64_e32 v[168:169], s[24:25], v[178:179]
	s_delay_alu instid0(VALU_DEP_3) | instskip(NEXT) | instid1(VALU_DEP_2)
	v_add_f64_e32 v[11:12], v[13:14], v[11:12]
	v_fma_f64 v[170:171], v[186:187], s[14:15], v[168:169]
	v_fma_f64 v[13:14], v[186:187], s[36:37], v[168:169]
	s_delay_alu instid0(VALU_DEP_2) | instskip(SKIP_1) | instid1(VALU_DEP_3)
	v_add_f64_e32 v[7:8], v[170:171], v[7:8]
	v_mul_f64_e32 v[170:171], s[30:31], v[176:177]
	v_add_f64_e32 v[13:14], v[13:14], v[9:10]
	s_delay_alu instid0(VALU_DEP_2) | instskip(SKIP_1) | instid1(VALU_DEP_2)
	v_fma_f64 v[172:173], v[192:193], s[12:13], v[170:171]
	v_fma_f64 v[9:10], v[192:193], s[12:13], -v[170:171]
	v_add_f64_e32 v[5:6], v[172:173], v[5:6]
	v_mul_f64_e32 v[172:173], s[12:13], v[182:183]
	s_delay_alu instid0(VALU_DEP_3) | instskip(NEXT) | instid1(VALU_DEP_2)
	v_add_f64_e32 v[9:10], v[9:10], v[11:12]
	v_fma_f64 v[15:16], v[194:195], s[30:31], v[172:173]
	v_fma_f64 v[174:175], v[194:195], s[16:17], v[172:173]
	s_delay_alu instid0(VALU_DEP_2) | instskip(SKIP_2) | instid1(VALU_DEP_4)
	v_add_f64_e32 v[11:12], v[15:16], v[13:14]
	v_fma_f64 v[13:14], v[53:54], s[22:23], v[23:24]
	v_fma_f64 v[23:24], v[53:54], s[22:23], -v[23:24]
	v_add_f64_e32 v[7:8], v[174:175], v[7:8]
	s_delay_alu instid0(VALU_DEP_3) | instskip(SKIP_1) | instid1(VALU_DEP_4)
	v_add_f64_e32 v[13:14], v[13:14], v[25:26]
	v_mul_f64_e32 v[25:26], s[22:23], v[51:52]
	v_add_f64_e32 v[17:18], v[23:24], v[17:18]
	s_delay_alu instid0(VALU_DEP_2) | instskip(SKIP_1) | instid1(VALU_DEP_2)
	v_fma_f64 v[15:16], v[55:56], s[20:21], v[25:26]
	v_fma_f64 v[23:24], v[55:56], s[40:41], v[25:26]
	v_add_f64_e32 v[15:16], v[15:16], v[31:32]
	v_mul_f64_e32 v[31:32], s[34:35], v[21:22]
	s_delay_alu instid0(VALU_DEP_3) | instskip(NEXT) | instid1(VALU_DEP_2)
	v_add_f64_e32 v[23:24], v[23:24], v[33:34]
	v_fma_f64 v[164:165], v[63:64], s[28:29], v[31:32]
	v_fma_f64 v[25:26], v[63:64], s[28:29], -v[31:32]
	s_delay_alu instid0(VALU_DEP_2) | instskip(SKIP_1) | instid1(VALU_DEP_3)
	v_add_f64_e32 v[13:14], v[164:165], v[13:14]
	v_mul_f64_e32 v[164:165], s[28:29], v[61:62]
	v_add_f64_e32 v[17:18], v[25:26], v[17:18]
	s_delay_alu instid0(VALU_DEP_2) | instskip(SKIP_1) | instid1(VALU_DEP_2)
	v_fma_f64 v[166:167], v[65:66], s[8:9], v[164:165]
	v_fma_f64 v[25:26], v[65:66], s[34:35], v[164:165]
	v_add_f64_e32 v[15:16], v[166:167], v[15:16]
	v_mul_f64_e32 v[166:167], s[16:17], v[180:181]
	s_delay_alu instid0(VALU_DEP_3) | instskip(NEXT) | instid1(VALU_DEP_2)
	v_add_f64_e32 v[23:24], v[25:26], v[23:24]
	v_fma_f64 v[168:169], v[184:185], s[12:13], v[166:167]
	v_fma_f64 v[25:26], v[184:185], s[12:13], -v[166:167]
	s_delay_alu instid0(VALU_DEP_2) | instskip(SKIP_1) | instid1(VALU_DEP_3)
	;; [unrolled: 13-line block ×3, first 2 shown]
	v_add_f64_e32 v[13:14], v[172:173], v[13:14]
	v_mul_f64_e32 v[172:173], s[26:27], v[182:183]
	v_add_f64_e32 v[164:165], v[25:26], v[17:18]
	v_mul_f64_e32 v[17:18], s[36:37], v[49:50]
	v_mul_f64_e32 v[25:26], s[24:25], v[51:52]
	s_delay_alu instid0(VALU_DEP_4) | instskip(SKIP_2) | instid1(VALU_DEP_3)
	v_fma_f64 v[31:32], v[194:195], s[18:19], v[172:173]
	v_fma_f64 v[174:175], v[194:195], s[38:39], v[172:173]
	v_mul_f64_e32 v[172:173], s[22:23], v[178:179]
	v_add_f64_e32 v[166:167], v[31:32], v[23:24]
	v_fma_f64 v[23:24], v[53:54], s[24:25], v[17:18]
	v_mul_f64_e32 v[31:32], s[16:17], v[21:22]
	v_fma_f64 v[17:18], v[53:54], s[24:25], -v[17:18]
	v_add_f64_e32 v[15:16], v[174:175], v[15:16]
	v_mul_f64_e32 v[174:175], s[34:35], v[176:177]
	v_mul_f64_e32 v[21:22], s[18:19], v[21:22]
	v_add_f64_e32 v[23:24], v[23:24], v[27:28]
	v_fma_f64 v[33:34], v[63:64], s[12:13], v[31:32]
	v_fma_f64 v[27:28], v[55:56], s[14:15], v[25:26]
	v_add_f64_e32 v[17:18], v[17:18], v[19:20]
	v_fma_f64 v[19:20], v[55:56], s[36:37], v[25:26]
	v_fma_f64 v[25:26], v[63:64], s[12:13], -v[31:32]
	v_add_f64_e32 v[23:24], v[33:34], v[23:24]
	v_mul_f64_e32 v[33:34], s[12:13], v[61:62]
	v_add_f64_e32 v[27:28], v[27:28], v[39:40]
	v_add_f64_e32 v[19:20], v[19:20], v[35:36]
	;; [unrolled: 1-line block ×3, first 2 shown]
	v_mul_f64_e32 v[35:36], s[24:25], v[182:183]
	v_fma_f64 v[39:40], v[65:66], s[30:31], v[33:34]
	v_fma_f64 v[25:26], v[65:66], s[16:17], v[33:34]
	s_delay_alu instid0(VALU_DEP_2) | instskip(SKIP_1) | instid1(VALU_DEP_3)
	v_add_f64_e32 v[27:28], v[39:40], v[27:28]
	v_mul_f64_e32 v[39:40], s[20:21], v[180:181]
	v_add_f64_e32 v[19:20], v[25:26], v[19:20]
	s_delay_alu instid0(VALU_DEP_2) | instskip(SKIP_1) | instid1(VALU_DEP_2)
	v_fma_f64 v[168:169], v[184:185], s[22:23], v[39:40]
	v_fma_f64 v[25:26], v[184:185], s[22:23], -v[39:40]
	v_add_f64_e32 v[23:24], v[168:169], v[23:24]
	v_fma_f64 v[168:169], v[186:187], s[40:41], v[172:173]
	s_delay_alu instid0(VALU_DEP_3) | instskip(SKIP_1) | instid1(VALU_DEP_3)
	v_add_f64_e32 v[17:18], v[25:26], v[17:18]
	v_fma_f64 v[25:26], v[186:187], s[20:21], v[172:173]
	v_add_f64_e32 v[27:28], v[168:169], v[27:28]
	v_fma_f64 v[168:169], v[192:193], s[28:29], v[174:175]
	s_delay_alu instid0(VALU_DEP_3) | instskip(SKIP_1) | instid1(VALU_DEP_3)
	v_add_f64_e32 v[19:20], v[25:26], v[19:20]
	v_fma_f64 v[25:26], v[192:193], s[28:29], -v[174:175]
	v_add_f64_e32 v[168:169], v[168:169], v[23:24]
	v_mul_f64_e32 v[23:24], s[28:29], v[182:183]
	s_delay_alu instid0(VALU_DEP_3) | instskip(SKIP_1) | instid1(VALU_DEP_3)
	v_add_f64_e32 v[172:173], v[25:26], v[17:18]
	v_mul_f64_e32 v[17:18], s[30:31], v[49:50]
	v_fma_f64 v[170:171], v[194:195], s[8:9], v[23:24]
	v_fma_f64 v[23:24], v[194:195], s[34:35], v[23:24]
	s_delay_alu instid0(VALU_DEP_2) | instskip(NEXT) | instid1(VALU_DEP_2)
	v_add_f64_e32 v[170:171], v[170:171], v[27:28]
	v_add_f64_e32 v[174:175], v[23:24], v[19:20]
	v_fma_f64 v[19:20], v[53:54], s[12:13], v[17:18]
	v_mul_f64_e32 v[23:24], s[12:13], v[51:52]
	v_fma_f64 v[27:28], v[63:64], s[26:27], v[21:22]
	v_fma_f64 v[17:18], v[53:54], s[12:13], -v[17:18]
	v_fma_f64 v[21:22], v[63:64], s[26:27], -v[21:22]
	v_add_f64_e32 v[19:20], v[19:20], v[29:30]
	v_fma_f64 v[25:26], v[55:56], s[16:17], v[23:24]
	s_delay_alu instid0(VALU_DEP_4) | instskip(NEXT) | instid1(VALU_DEP_3)
	v_add_f64_e32 v[17:18], v[17:18], v[43:44]
	v_add_f64_e32 v[19:20], v[27:28], v[19:20]
	v_mul_f64_e32 v[27:28], s[26:27], v[61:62]
	s_delay_alu instid0(VALU_DEP_4) | instskip(NEXT) | instid1(VALU_DEP_4)
	v_add_f64_e32 v[25:26], v[25:26], v[41:42]
	v_add_f64_e32 v[17:18], v[21:22], v[17:18]
	s_delay_alu instid0(VALU_DEP_3) | instskip(SKIP_1) | instid1(VALU_DEP_2)
	v_fma_f64 v[29:30], v[65:66], s[38:39], v[27:28]
	v_fma_f64 v[21:22], v[65:66], s[18:19], v[27:28]
	v_add_f64_e32 v[25:26], v[29:30], v[25:26]
	v_mul_f64_e32 v[29:30], s[34:35], v[180:181]
	s_delay_alu instid0(VALU_DEP_1) | instskip(NEXT) | instid1(VALU_DEP_1)
	v_fma_f64 v[31:32], v[184:185], s[28:29], v[29:30]
	v_add_f64_e32 v[19:20], v[31:32], v[19:20]
	v_mul_f64_e32 v[31:32], s[28:29], v[178:179]
	s_delay_alu instid0(VALU_DEP_1) | instskip(NEXT) | instid1(VALU_DEP_1)
	;; [unrolled: 4-line block ×3, first 2 shown]
	v_fma_f64 v[39:40], v[192:193], s[24:25], v[33:34]
	v_add_f64_e32 v[176:177], v[39:40], v[19:20]
	v_fma_f64 v[19:20], v[194:195], s[36:37], v[35:36]
	s_delay_alu instid0(VALU_DEP_1) | instskip(SKIP_2) | instid1(VALU_DEP_2)
	v_add_f64_e32 v[178:179], v[19:20], v[25:26]
	v_fma_f64 v[19:20], v[55:56], s[30:31], v[23:24]
	v_fma_f64 v[23:24], v[194:195], s[14:15], v[35:36]
	v_add_f64_e32 v[19:20], v[19:20], v[45:46]
	s_delay_alu instid0(VALU_DEP_1) | instskip(SKIP_1) | instid1(VALU_DEP_1)
	v_add_f64_e32 v[19:20], v[21:22], v[19:20]
	v_fma_f64 v[21:22], v[184:185], s[28:29], -v[29:30]
	v_add_f64_e32 v[17:18], v[21:22], v[17:18]
	v_fma_f64 v[21:22], v[186:187], s[34:35], v[31:32]
	s_delay_alu instid0(VALU_DEP_1) | instskip(SKIP_1) | instid1(VALU_DEP_2)
	v_add_f64_e32 v[19:20], v[21:22], v[19:20]
	v_fma_f64 v[21:22], v[192:193], s[24:25], -v[33:34]
	v_add_f64_e32 v[182:183], v[23:24], v[19:20]
	s_delay_alu instid0(VALU_DEP_2) | instskip(SKIP_4) | instid1(VALU_DEP_4)
	v_add_f64_e32 v[180:181], v[21:22], v[17:18]
	v_fma_f64 v[17:18], v[53:54], s[28:29], -v[57:58]
	v_fma_f64 v[19:20], v[55:56], s[8:9], v[59:60]
	v_fma_f64 v[21:22], v[63:64], s[24:25], -v[67:68]
	v_fma_f64 v[23:24], v[65:66], s[14:15], v[69:70]
	v_add_f64_e32 v[17:18], v[17:18], v[37:38]
	s_delay_alu instid0(VALU_DEP_4) | instskip(NEXT) | instid1(VALU_DEP_2)
	v_add_f64_e32 v[19:20], v[19:20], v[47:48]
	v_add_f64_e32 v[17:18], v[21:22], v[17:18]
	s_delay_alu instid0(VALU_DEP_2) | instskip(SKIP_2) | instid1(VALU_DEP_2)
	v_add_f64_e32 v[19:20], v[23:24], v[19:20]
	v_fma_f64 v[21:22], v[184:185], s[26:27], -v[188:189]
	v_fma_f64 v[23:24], v[186:187], s[18:19], v[190:191]
	v_add_f64_e32 v[17:18], v[21:22], v[17:18]
	s_delay_alu instid0(VALU_DEP_2) | instskip(SKIP_2) | instid1(VALU_DEP_2)
	v_add_f64_e32 v[19:20], v[23:24], v[19:20]
	v_fma_f64 v[21:22], v[192:193], s[22:23], -v[196:197]
	v_fma_f64 v[23:24], v[194:195], s[20:21], v[198:199]
	v_add_f64_e32 v[184:185], v[21:22], v[17:18]
	s_delay_alu instid0(VALU_DEP_2)
	v_add_f64_e32 v[186:187], v[23:24], v[19:20]
	ds_store_b128 v254, v[80:83]
	ds_store_b128 v254, v[76:79] offset:816
	ds_store_b128 v254, v[88:91] offset:1632
	;; [unrolled: 1-line block ×32, first 2 shown]
	global_wb scope:SCOPE_SE
	s_wait_dscnt 0x0
	s_barrier_signal -1
	s_barrier_wait -1
	global_inv scope:SCOPE_SE
	s_clause 0x1
	scratch_load_b128 v[10:13], off, off offset:984 th:TH_LOAD_LU
	scratch_load_b128 v[18:21], off, off offset:1140 th:TH_LOAD_LU
	ds_load_b128 v[0:3], v254 offset:8976
	s_clause 0x1
	scratch_load_b128 v[28:31], off, off offset:1304 th:TH_LOAD_LU
	scratch_load_b128 v[32:35], off, off offset:1320 th:TH_LOAD_LU
	ds_load_b128 v[70:73], v254 offset:4080
	s_wait_loadcnt_dscnt 0x301
	v_mul_f64_e32 v[4:5], v[12:13], v[2:3]
	s_delay_alu instid0(VALU_DEP_1)
	v_fma_f64 v[8:9], v[10:11], v[0:1], v[4:5]
	v_mul_f64_e32 v[0:1], v[12:13], v[0:1]
	scratch_load_b128 v[12:15], off, off offset:1172 th:TH_LOAD_LU ; 16-byte Folded Reload
	v_fma_f64 v[4:5], v[10:11], v[2:3], -v[0:1]
	ds_load_b128 v[0:3], v254 offset:17952
	s_wait_loadcnt_dscnt 0x0
	v_mul_f64_e32 v[6:7], v[14:15], v[2:3]
	s_delay_alu instid0(VALU_DEP_1) | instskip(SKIP_1) | instid1(VALU_DEP_1)
	v_fma_f64 v[10:11], v[12:13], v[0:1], v[6:7]
	v_mul_f64_e32 v[0:1], v[14:15], v[0:1]
	v_fma_f64 v[6:7], v[12:13], v[2:3], -v[0:1]
	ds_load_b128 v[0:3], v254 offset:9792
	s_wait_dscnt 0x0
	v_mul_f64_e32 v[12:13], v[20:21], v[2:3]
	v_add_f64_e32 v[14:15], v[4:5], v[6:7]
	s_delay_alu instid0(VALU_DEP_2)
	v_fma_f64 v[16:17], v[18:19], v[0:1], v[12:13]
	v_mul_f64_e32 v[0:1], v[20:21], v[0:1]
	scratch_load_b128 v[20:23], off, off offset:1252 th:TH_LOAD_LU ; 16-byte Folded Reload
	v_fma_f64 v[18:19], v[18:19], v[2:3], -v[0:1]
	ds_load_b128 v[0:3], v254 offset:18768
	s_wait_loadcnt_dscnt 0x0
	v_mul_f64_e32 v[12:13], v[22:23], v[2:3]
	s_delay_alu instid0(VALU_DEP_1) | instskip(SKIP_1) | instid1(VALU_DEP_1)
	v_fma_f64 v[24:25], v[20:21], v[0:1], v[12:13]
	v_mul_f64_e32 v[0:1], v[22:23], v[0:1]
	v_fma_f64 v[26:27], v[20:21], v[2:3], -v[0:1]
	scratch_load_b128 v[20:23], off, off offset:1220 th:TH_LOAD_LU ; 16-byte Folded Reload
	ds_load_b128 v[0:3], v254 offset:10608
	s_wait_loadcnt_dscnt 0x0
	v_mul_f64_e32 v[12:13], v[22:23], v[2:3]
	s_delay_alu instid0(VALU_DEP_1) | instskip(SKIP_1) | instid1(VALU_DEP_1)
	v_fma_f64 v[38:39], v[20:21], v[0:1], v[12:13]
	v_mul_f64_e32 v[0:1], v[22:23], v[0:1]
	v_fma_f64 v[40:41], v[20:21], v[2:3], -v[0:1]
	scratch_load_b128 v[20:23], off, off offset:1204 th:TH_LOAD_LU ; 16-byte Folded Reload
	ds_load_b128 v[0:3], v254 offset:19584
	s_wait_loadcnt_dscnt 0x0
	v_mul_f64_e32 v[12:13], v[22:23], v[2:3]
	s_delay_alu instid0(VALU_DEP_1) | instskip(SKIP_1) | instid1(VALU_DEP_2)
	v_fma_f64 v[42:43], v[20:21], v[0:1], v[12:13]
	v_mul_f64_e32 v[0:1], v[22:23], v[0:1]
	v_add_f64_e32 v[46:47], v[38:39], v[42:43]
	s_delay_alu instid0(VALU_DEP_2)
	v_fma_f64 v[44:45], v[20:21], v[2:3], -v[0:1]
	scratch_load_b128 v[20:23], off, off offset:1268 th:TH_LOAD_LU ; 16-byte Folded Reload
	ds_load_b128 v[0:3], v254 offset:11424
	v_add_f64_e32 v[48:49], v[40:41], v[44:45]
	s_wait_loadcnt_dscnt 0x0
	v_mul_f64_e32 v[12:13], v[22:23], v[2:3]
	s_delay_alu instid0(VALU_DEP_1) | instskip(SKIP_1) | instid1(VALU_DEP_1)
	v_fma_f64 v[50:51], v[20:21], v[0:1], v[12:13]
	v_mul_f64_e32 v[0:1], v[22:23], v[0:1]
	v_fma_f64 v[52:53], v[20:21], v[2:3], -v[0:1]
	scratch_load_b128 v[20:23], off, off offset:1288 th:TH_LOAD_LU ; 16-byte Folded Reload
	ds_load_b128 v[0:3], v254 offset:20400
	s_wait_loadcnt_dscnt 0x0
	v_mul_f64_e32 v[12:13], v[22:23], v[2:3]
	s_delay_alu instid0(VALU_DEP_1) | instskip(SKIP_1) | instid1(VALU_DEP_2)
	v_fma_f64 v[54:55], v[20:21], v[0:1], v[12:13]
	v_mul_f64_e32 v[0:1], v[22:23], v[0:1]
	v_add_f64_e32 v[58:59], v[50:51], v[54:55]
	s_delay_alu instid0(VALU_DEP_2) | instskip(SKIP_4) | instid1(VALU_DEP_2)
	v_fma_f64 v[56:57], v[20:21], v[2:3], -v[0:1]
	ds_load_b128 v[0:3], v254 offset:12240
	s_wait_dscnt 0x0
	v_mul_f64_e32 v[12:13], v[30:31], v[2:3]
	v_add_f64_e32 v[60:61], v[52:53], v[56:57]
	v_fma_f64 v[20:21], v[28:29], v[0:1], v[12:13]
	v_mul_f64_e32 v[0:1], v[30:31], v[0:1]
	s_delay_alu instid0(VALU_DEP_1) | instskip(SKIP_3) | instid1(VALU_DEP_1)
	v_fma_f64 v[62:63], v[28:29], v[2:3], -v[0:1]
	ds_load_b128 v[0:3], v254 offset:21216
	s_wait_dscnt 0x0
	v_mul_f64_e32 v[12:13], v[34:35], v[2:3]
	v_fma_f64 v[30:31], v[32:33], v[0:1], v[12:13]
	v_mul_f64_e32 v[0:1], v[34:35], v[0:1]
	s_delay_alu instid0(VALU_DEP_2) | instskip(NEXT) | instid1(VALU_DEP_2)
	v_add_f64_e32 v[64:65], v[20:21], v[30:31]
	v_fma_f64 v[36:37], v[32:33], v[2:3], -v[0:1]
	scratch_load_b128 v[32:35], off, off offset:1336 th:TH_LOAD_LU ; 16-byte Folded Reload
	ds_load_b128 v[0:3], v254 offset:13056
	v_add_f64_e32 v[66:67], v[62:63], v[36:37]
	s_wait_loadcnt_dscnt 0x0
	v_mul_f64_e32 v[12:13], v[34:35], v[2:3]
	s_delay_alu instid0(VALU_DEP_1) | instskip(SKIP_1) | instid1(VALU_DEP_1)
	v_fma_f64 v[22:23], v[32:33], v[0:1], v[12:13]
	v_mul_f64_e32 v[0:1], v[34:35], v[0:1]
	v_fma_f64 v[28:29], v[32:33], v[2:3], -v[0:1]
	scratch_load_b128 v[32:35], off, off offset:1236 th:TH_LOAD_LU ; 16-byte Folded Reload
	ds_load_b128 v[0:3], v254 offset:22032
	s_wait_loadcnt_dscnt 0x0
	v_mul_f64_e32 v[12:13], v[34:35], v[2:3]
	s_delay_alu instid0(VALU_DEP_1) | instskip(SKIP_1) | instid1(VALU_DEP_1)
	v_fma_f64 v[74:75], v[32:33], v[0:1], v[12:13]
	v_mul_f64_e32 v[0:1], v[34:35], v[0:1]
	v_fma_f64 v[76:77], v[32:33], v[2:3], -v[0:1]
	scratch_load_b128 v[32:35], off, off offset:1188 th:TH_LOAD_LU ; 16-byte Folded Reload
	ds_load_b128 v[0:3], v254 offset:13872
	;; [unrolled: 8-line block ×6, first 2 shown]
	v_add_f64_e32 v[98:99], v[92:93], v[96:97]
	s_wait_loadcnt_dscnt 0x0
	v_mul_f64_e32 v[12:13], v[34:35], v[2:3]
	s_delay_alu instid0(VALU_DEP_1) | instskip(SKIP_1) | instid1(VALU_DEP_1)
	v_fma_f64 v[102:103], v[32:33], v[0:1], v[12:13]
	v_mul_f64_e32 v[0:1], v[34:35], v[0:1]
	v_fma_f64 v[104:105], v[32:33], v[2:3], -v[0:1]
	scratch_load_b128 v[32:35], off, off offset:1056 th:TH_LOAD_LU ; 16-byte Folded Reload
	ds_load_b128 v[0:3], v254 offset:24480
	s_wait_loadcnt_dscnt 0x0
	v_mul_f64_e32 v[12:13], v[34:35], v[2:3]
	s_delay_alu instid0(VALU_DEP_1) | instskip(SKIP_1) | instid1(VALU_DEP_1)
	v_fma_f64 v[106:107], v[32:33], v[0:1], v[12:13]
	v_mul_f64_e32 v[0:1], v[34:35], v[0:1]
	v_fma_f64 v[108:109], v[32:33], v[2:3], -v[0:1]
	scratch_load_b128 v[32:35], off, off offset:1004 th:TH_LOAD_LU ; 16-byte Folded Reload
	ds_load_b128 v[0:3], v254 offset:16320
	v_add_f64_e32 v[110:111], v[104:105], v[108:109]
	s_wait_loadcnt_dscnt 0x0
	v_mul_f64_e32 v[12:13], v[34:35], v[2:3]
	s_delay_alu instid0(VALU_DEP_1) | instskip(SKIP_1) | instid1(VALU_DEP_1)
	v_fma_f64 v[114:115], v[32:33], v[0:1], v[12:13]
	v_mul_f64_e32 v[0:1], v[34:35], v[0:1]
	v_fma_f64 v[116:117], v[32:33], v[2:3], -v[0:1]
	scratch_load_b128 v[32:35], off, off offset:1024 th:TH_LOAD_LU ; 16-byte Folded Reload
	ds_load_b128 v[0:3], v254 offset:25296
	s_wait_loadcnt_dscnt 0x0
	v_mul_f64_e32 v[12:13], v[34:35], v[2:3]
	s_delay_alu instid0(VALU_DEP_1) | instskip(SKIP_1) | instid1(VALU_DEP_1)
	v_fma_f64 v[118:119], v[32:33], v[0:1], v[12:13]
	v_mul_f64_e32 v[0:1], v[34:35], v[0:1]
	v_fma_f64 v[120:121], v[32:33], v[2:3], -v[0:1]
	scratch_load_b128 v[32:35], off, off offset:1040 th:TH_LOAD_LU ; 16-byte Folded Reload
	ds_load_b128 v[0:3], v254 offset:17136
	v_add_f64_e32 v[122:123], v[116:117], v[120:121]
	s_wait_loadcnt_dscnt 0x0
	v_mul_f64_e32 v[12:13], v[34:35], v[2:3]
	s_delay_alu instid0(VALU_DEP_1) | instskip(SKIP_1) | instid1(VALU_DEP_1)
	v_fma_f64 v[126:127], v[32:33], v[0:1], v[12:13]
	v_mul_f64_e32 v[0:1], v[34:35], v[0:1]
	v_fma_f64 v[128:129], v[32:33], v[2:3], -v[0:1]
	scratch_load_b128 v[32:35], off, off offset:1072 th:TH_LOAD_LU ; 16-byte Folded Reload
	ds_load_b128 v[0:3], v254 offset:26112
	s_wait_loadcnt_dscnt 0x0
	v_mul_f64_e32 v[12:13], v[34:35], v[2:3]
	s_delay_alu instid0(VALU_DEP_1) | instskip(SKIP_3) | instid1(VALU_DEP_3)
	v_fma_f64 v[130:131], v[32:33], v[0:1], v[12:13]
	v_mul_f64_e32 v[0:1], v[34:35], v[0:1]
	v_add_f64_e32 v[12:13], v[8:9], v[10:11]
	v_add_f64_e32 v[34:35], v[18:19], v[26:27]
	v_fma_f64 v[132:133], v[32:33], v[2:3], -v[0:1]
	ds_load_b128 v[0:3], v254
	v_add_f64_e64 v[32:33], v[4:5], -v[6:7]
	s_wait_dscnt 0x0
	v_fma_f64 v[12:13], v[12:13], -0.5, v[0:1]
	v_add_f64_e32 v[0:1], v[0:1], v[8:9]
	v_fma_f64 v[14:15], v[14:15], -0.5, v[2:3]
	v_add_f64_e32 v[2:3], v[2:3], v[4:5]
	v_add_f64_e32 v[134:135], v[128:129], v[132:133]
	s_delay_alu instid0(VALU_DEP_4) | instskip(SKIP_1) | instid1(VALU_DEP_4)
	v_add_f64_e32 v[4:5], v[0:1], v[10:11]
	v_add_f64_e64 v[10:11], v[8:9], -v[10:11]
	v_add_f64_e32 v[6:7], v[2:3], v[6:7]
	v_fma_f64 v[0:1], v[32:33], s[0:1], v[12:13]
	v_fma_f64 v[8:9], v[32:33], s[2:3], v[12:13]
	v_add_f64_e32 v[32:33], v[16:17], v[24:25]
	v_fma_f64 v[2:3], v[10:11], s[2:3], v[14:15]
	v_fma_f64 v[10:11], v[10:11], s[0:1], v[14:15]
	ds_load_b128 v[12:15], v254 offset:816
	s_wait_dscnt 0x0
	v_fma_f64 v[34:35], v[34:35], -0.5, v[14:15]
	v_add_f64_e32 v[14:15], v[14:15], v[18:19]
	v_fma_f64 v[32:33], v[32:33], -0.5, v[12:13]
	v_add_f64_e32 v[12:13], v[12:13], v[16:17]
	v_add_f64_e64 v[18:19], v[18:19], -v[26:27]
	s_delay_alu instid0(VALU_DEP_4) | instskip(SKIP_1) | instid1(VALU_DEP_4)
	v_add_f64_e32 v[14:15], v[14:15], v[26:27]
	v_add_f64_e64 v[26:27], v[16:17], -v[24:25]
	v_add_f64_e32 v[12:13], v[12:13], v[24:25]
	s_delay_alu instid0(VALU_DEP_4) | instskip(SKIP_1) | instid1(VALU_DEP_4)
	v_fma_f64 v[16:17], v[18:19], s[0:1], v[32:33]
	v_fma_f64 v[24:25], v[18:19], s[2:3], v[32:33]
	v_fma_f64 v[18:19], v[26:27], s[2:3], v[34:35]
	v_fma_f64 v[26:27], v[26:27], s[0:1], v[34:35]
	ds_load_b128 v[32:35], v254 offset:1632
	s_wait_dscnt 0x0
	v_fma_f64 v[48:49], v[48:49], -0.5, v[34:35]
	v_add_f64_e32 v[34:35], v[34:35], v[40:41]
	v_fma_f64 v[46:47], v[46:47], -0.5, v[32:33]
	v_add_f64_e32 v[32:33], v[32:33], v[38:39]
	v_add_f64_e64 v[40:41], v[40:41], -v[44:45]
	s_delay_alu instid0(VALU_DEP_4) | instskip(SKIP_1) | instid1(VALU_DEP_4)
	v_add_f64_e32 v[34:35], v[34:35], v[44:45]
	v_add_f64_e64 v[44:45], v[38:39], -v[42:43]
	v_add_f64_e32 v[32:33], v[32:33], v[42:43]
	s_delay_alu instid0(VALU_DEP_4) | instskip(SKIP_1) | instid1(VALU_DEP_4)
	v_fma_f64 v[38:39], v[40:41], s[0:1], v[46:47]
	v_fma_f64 v[42:43], v[40:41], s[2:3], v[46:47]
	;; [unrolled: 16-line block ×3, first 2 shown]
	v_fma_f64 v[52:53], v[56:57], s[2:3], v[60:61]
	v_fma_f64 v[56:57], v[56:57], s[0:1], v[60:61]
	ds_load_b128 v[58:61], v254 offset:3264
	s_wait_dscnt 0x0
	v_fma_f64 v[64:65], v[64:65], -0.5, v[58:59]
	v_fma_f64 v[68:69], v[66:67], -0.5, v[60:61]
	v_add_f64_e32 v[58:59], v[58:59], v[20:21]
	v_add_f64_e64 v[66:67], v[62:63], -v[36:37]
	v_add_f64_e64 v[20:21], v[20:21], -v[30:31]
	v_add_f64_e32 v[60:61], v[60:61], v[62:63]
	s_delay_alu instid0(VALU_DEP_4) | instskip(NEXT) | instid1(VALU_DEP_4)
	v_add_f64_e32 v[58:59], v[58:59], v[30:31]
	v_fma_f64 v[62:63], v[66:67], s[0:1], v[64:65]
	v_fma_f64 v[66:67], v[66:67], s[2:3], v[64:65]
	;; [unrolled: 1-line block ×4, first 2 shown]
	v_add_f64_e32 v[20:21], v[22:23], v[74:75]
	v_add_f64_e32 v[60:61], v[60:61], v[36:37]
	s_delay_alu instid0(VALU_DEP_2) | instskip(SKIP_2) | instid1(VALU_DEP_2)
	v_fma_f64 v[36:37], v[20:21], -0.5, v[70:71]
	v_add_f64_e32 v[20:21], v[28:29], v[76:77]
	v_add_f64_e32 v[70:71], v[70:71], v[22:23]
	v_fma_f64 v[86:87], v[20:21], -0.5, v[72:73]
	v_add_f64_e32 v[20:21], v[72:73], v[28:29]
	v_add_f64_e64 v[72:73], v[28:29], -v[76:77]
	s_delay_alu instid0(VALU_DEP_4) | instskip(SKIP_1) | instid1(VALU_DEP_4)
	v_add_f64_e32 v[28:29], v[70:71], v[74:75]
	v_add_f64_e64 v[74:75], v[22:23], -v[74:75]
	v_add_f64_e32 v[30:31], v[20:21], v[76:77]
	s_delay_alu instid0(VALU_DEP_4) | instskip(SKIP_1) | instid1(VALU_DEP_4)
	v_fma_f64 v[20:21], v[72:73], s[0:1], v[36:37]
	v_fma_f64 v[70:71], v[72:73], s[2:3], v[36:37]
	;; [unrolled: 1-line block ×4, first 2 shown]
	v_add_f64_e32 v[86:87], v[80:81], v[84:85]
	ds_load_b128 v[74:77], v254 offset:4896
	v_add_f64_e32 v[36:37], v[78:79], v[82:83]
	s_wait_dscnt 0x0
	v_fma_f64 v[86:87], v[86:87], -0.5, v[76:77]
	v_add_f64_e32 v[76:77], v[76:77], v[80:81]
	s_delay_alu instid0(VALU_DEP_3) | instskip(SKIP_2) | instid1(VALU_DEP_4)
	v_fma_f64 v[36:37], v[36:37], -0.5, v[74:75]
	v_add_f64_e32 v[74:75], v[74:75], v[78:79]
	v_add_f64_e64 v[80:81], v[80:81], -v[84:85]
	v_add_f64_e32 v[76:77], v[76:77], v[84:85]
	v_add_f64_e64 v[84:85], v[78:79], -v[82:83]
	s_delay_alu instid0(VALU_DEP_4) | instskip(NEXT) | instid1(VALU_DEP_4)
	v_add_f64_e32 v[74:75], v[74:75], v[82:83]
	v_fma_f64 v[78:79], v[80:81], s[0:1], v[36:37]
	v_fma_f64 v[82:83], v[80:81], s[2:3], v[36:37]
	v_add_f64_e32 v[36:37], v[90:91], v[94:95]
	v_fma_f64 v[80:81], v[84:85], s[2:3], v[86:87]
	v_fma_f64 v[84:85], v[84:85], s[0:1], v[86:87]
	ds_load_b128 v[86:89], v254 offset:5712
	s_wait_dscnt 0x0
	v_fma_f64 v[98:99], v[98:99], -0.5, v[88:89]
	v_add_f64_e32 v[88:89], v[88:89], v[92:93]
	v_fma_f64 v[36:37], v[36:37], -0.5, v[86:87]
	v_add_f64_e32 v[86:87], v[86:87], v[90:91]
	v_add_f64_e64 v[92:93], v[92:93], -v[96:97]
	s_delay_alu instid0(VALU_DEP_4) | instskip(SKIP_1) | instid1(VALU_DEP_4)
	v_add_f64_e32 v[88:89], v[88:89], v[96:97]
	v_add_f64_e64 v[96:97], v[90:91], -v[94:95]
	v_add_f64_e32 v[86:87], v[86:87], v[94:95]
	s_delay_alu instid0(VALU_DEP_4)
	v_fma_f64 v[90:91], v[92:93], s[0:1], v[36:37]
	v_fma_f64 v[94:95], v[92:93], s[2:3], v[36:37]
	v_add_f64_e32 v[36:37], v[102:103], v[106:107]
	v_fma_f64 v[92:93], v[96:97], s[2:3], v[98:99]
	v_fma_f64 v[96:97], v[96:97], s[0:1], v[98:99]
	ds_load_b128 v[98:101], v254 offset:6528
	s_wait_dscnt 0x0
	v_fma_f64 v[110:111], v[110:111], -0.5, v[100:101]
	v_add_f64_e32 v[100:101], v[100:101], v[104:105]
	v_fma_f64 v[36:37], v[36:37], -0.5, v[98:99]
	v_add_f64_e32 v[98:99], v[98:99], v[102:103]
	v_add_f64_e64 v[104:105], v[104:105], -v[108:109]
	s_delay_alu instid0(VALU_DEP_4) | instskip(SKIP_1) | instid1(VALU_DEP_4)
	v_add_f64_e32 v[100:101], v[100:101], v[108:109]
	v_add_f64_e64 v[108:109], v[102:103], -v[106:107]
	v_add_f64_e32 v[98:99], v[98:99], v[106:107]
	s_delay_alu instid0(VALU_DEP_4)
	;; [unrolled: 17-line block ×3, first 2 shown]
	v_fma_f64 v[114:115], v[116:117], s[0:1], v[36:37]
	v_fma_f64 v[118:119], v[116:117], s[2:3], v[36:37]
	v_add_f64_e32 v[36:37], v[126:127], v[130:131]
	v_fma_f64 v[116:117], v[120:121], s[2:3], v[122:123]
	v_fma_f64 v[120:121], v[120:121], s[0:1], v[122:123]
	ds_load_b128 v[122:125], v254 offset:8160
	s_wait_dscnt 0x0
	v_fma_f64 v[134:135], v[134:135], -0.5, v[124:125]
	v_add_f64_e32 v[124:125], v[124:125], v[128:129]
	v_fma_f64 v[36:37], v[36:37], -0.5, v[122:123]
	v_add_f64_e32 v[122:123], v[122:123], v[126:127]
	v_add_f64_e64 v[128:129], v[128:129], -v[132:133]
	s_delay_alu instid0(VALU_DEP_4) | instskip(SKIP_1) | instid1(VALU_DEP_4)
	v_add_f64_e32 v[124:125], v[124:125], v[132:133]
	v_add_f64_e64 v[132:133], v[126:127], -v[130:131]
	v_add_f64_e32 v[122:123], v[122:123], v[130:131]
	s_delay_alu instid0(VALU_DEP_4) | instskip(SKIP_1) | instid1(VALU_DEP_4)
	v_fma_f64 v[126:127], v[128:129], s[0:1], v[36:37]
	v_fma_f64 v[130:131], v[128:129], s[2:3], v[36:37]
	;; [unrolled: 1-line block ×4, first 2 shown]
	ds_store_b128 v254, v[4:7]
	ds_store_b128 v254, v[12:15] offset:816
	ds_store_b128 v254, v[8:11] offset:17952
	ds_store_b128 v254, v[24:27] offset:18768
	ds_store_b128 v254, v[16:19] offset:9792
	ds_store_b128 v254, v[38:41] offset:10608
	ds_store_b128 v254, v[32:35] offset:1632
	ds_store_b128 v254, v[46:49] offset:2448
	ds_store_b128 v254, v[42:45] offset:19584
	ds_store_b128 v254, v[54:57] offset:20400
	ds_store_b128 v254, v[50:53] offset:11424
	ds_store_b128 v254, v[62:65] offset:12240
	ds_store_b128 v254, v[58:61] offset:3264
	ds_store_b128 v254, v[28:31] offset:4080
	ds_store_b128 v254, v[66:69] offset:21216
	ds_store_b128 v254, v[70:73] offset:22032
	ds_store_b128 v254, v[20:23] offset:13056
	ds_store_b128 v254, v[78:81] offset:13872
	ds_store_b128 v254, v[74:77] offset:4896
	ds_store_b128 v254, v[86:89] offset:5712
	ds_store_b128 v254, v[82:85] offset:22848
	ds_store_b128 v254, v[94:97] offset:23664
	ds_store_b128 v254, v[90:93] offset:14688
	ds_store_b128 v254, v[102:105] offset:15504
	ds_store_b128 v254, v[98:101] offset:6528
	ds_store_b128 v254, v[110:113] offset:7344
	ds_store_b128 v254, v[106:109] offset:24480
	ds_store_b128 v254, v[118:121] offset:25296
	ds_store_b128 v254, v[0:3] offset:8976
	ds_store_b128 v254, v[122:125] offset:8160
	ds_store_b128 v254, v[114:117] offset:16320
	ds_store_b128 v254, v[126:129] offset:17136
	ds_store_b128 v254, v[130:133] offset:26112
	global_wb scope:SCOPE_SE
	s_wait_dscnt 0x0
	s_barrier_signal -1
	s_barrier_wait -1
	global_inv scope:SCOPE_SE
	ds_load_b128 v[0:3], v254
	ds_load_b128 v[4:7], v254 offset:1584
	scratch_load_b128 v[28:31], off, off offset:324 th:TH_LOAD_LU ; 16-byte Folded Reload
	s_mov_b32 s2, 0x87d568ce
	s_mov_b32 s3, 0x3f437851
	s_wait_loadcnt_dscnt 0x1
	v_mul_f64_e32 v[16:17], v[30:31], v[2:3]
	v_mul_f64_e32 v[18:19], v[30:31], v[0:1]
	scratch_load_b128 v[30:33], off, off offset:340 th:TH_LOAD_LU ; 16-byte Folded Reload
	ds_load_b128 v[8:11], v254 offset:3168
	ds_load_b128 v[12:15], v254 offset:4752
	s_clause 0x6
	scratch_load_b128 v[34:37], off, off offset:308 th:TH_LOAD_LU
	scratch_load_b128 v[54:57], off, off offset:292 th:TH_LOAD_LU
	;; [unrolled: 1-line block ×7, first 2 shown]
	v_fma_f64 v[0:1], v[28:29], v[0:1], v[16:17]
	v_fma_f64 v[2:3], v[28:29], v[2:3], -v[18:19]
	ds_load_b128 v[16:19], v254 offset:6336
	s_wait_loadcnt_dscnt 0x703
	v_mul_f64_e32 v[20:21], v[32:33], v[6:7]
	v_mul_f64_e32 v[22:23], v[32:33], v[4:5]
	s_wait_loadcnt_dscnt 0x602
	v_mul_f64_e32 v[24:25], v[36:37], v[10:11]
	v_mul_f64_e32 v[26:27], v[36:37], v[8:9]
	;; [unrolled: 3-line block ×3, first 2 shown]
	v_fma_f64 v[28:29], v[30:31], v[4:5], v[20:21]
	scratch_load_b64 v[20:21], off, off offset:220 th:TH_LOAD_LU ; 8-byte Folded Reload
	v_fma_f64 v[30:31], v[30:31], v[6:7], -v[22:23]
	scratch_load_b32 v22, off, off th:TH_LOAD_LU ; 4-byte Folded Reload
	ds_load_b128 v[4:7], v254 offset:7920
	s_wait_loadcnt_dscnt 0x601
	v_mul_f64_e32 v[42:43], v[60:61], v[18:19]
	v_mul_f64_e32 v[44:45], v[60:61], v[16:17]
	v_fma_f64 v[50:51], v[34:35], v[8:9], v[24:25]
	v_fma_f64 v[52:53], v[34:35], v[10:11], -v[26:27]
	ds_load_b128 v[8:11], v254 offset:9504
	v_fma_f64 v[38:39], v[54:55], v[14:15], -v[38:39]
	s_wait_alu 0xfffe
	v_mul_f64_e32 v[24:25], s[2:3], v[28:29]
	v_mul_f64_e32 v[26:27], s[2:3], v[30:31]
	ds_load_b128 v[28:31], v254 offset:11088
	v_fma_f64 v[56:57], v[58:59], v[16:17], v[42:43]
	v_fma_f64 v[58:59], v[58:59], v[18:19], -v[44:45]
	ds_load_b128 v[16:19], v254 offset:15840
	v_mul_f64_e32 v[38:39], s[2:3], v[38:39]
	s_wait_loadcnt_dscnt 0x501
	v_mul_f64_e32 v[42:43], v[78:79], v[30:31]
	v_mul_f64_e32 v[44:45], v[78:79], v[28:29]
	scratch_load_b128 v[78:81], off, off offset:156 th:TH_LOAD_LU ; 16-byte Folded Reload
	s_wait_loadcnt 0x5
	v_mul_f64_e32 v[46:47], v[64:65], v[6:7]
	v_mul_f64_e32 v[48:49], v[64:65], v[4:5]
	s_delay_alu instid0(VALU_DEP_2) | instskip(NEXT) | instid1(VALU_DEP_2)
	v_fma_f64 v[60:61], v[62:63], v[4:5], v[46:47]
	v_fma_f64 v[62:63], v[62:63], v[6:7], -v[48:49]
	v_mul_f64_e32 v[6:7], s[2:3], v[52:53]
	s_wait_loadcnt 0x2
	v_mov_b32_e32 v21, v20
	s_wait_loadcnt 0x1
	v_mad_co_u64_u32 v[40:41], null, s4, v22, 0
	s_delay_alu instid0(VALU_DEP_2) | instskip(NEXT) | instid1(VALU_DEP_1)
	v_mad_co_u64_u32 v[32:33], null, s6, v21, 0
	v_mov_b32_e32 v20, v33
	s_delay_alu instid0(VALU_DEP_1) | instskip(SKIP_3) | instid1(VALU_DEP_1)
	v_mad_co_u64_u32 v[20:21], null, s7, v21, v[20:21]
	s_mul_u64 s[6:7], s[4:5], 0x63
	s_wait_alu 0xfffe
	s_lshl_b64 s[6:7], s[6:7], 4
	v_dual_mov_b32 v33, v20 :: v_dual_mov_b32 v20, v41
	s_delay_alu instid0(VALU_DEP_1) | instskip(SKIP_1) | instid1(VALU_DEP_3)
	v_mad_co_u64_u32 v[34:35], null, s5, v22, v[20:21]
	v_mul_f64_e32 v[20:21], s[2:3], v[0:1]
	v_lshlrev_b64_e32 v[0:1], 4, v[32:33]
	v_mul_f64_e32 v[22:23], s[2:3], v[2:3]
	s_delay_alu instid0(VALU_DEP_4)
	v_mov_b32_e32 v41, v34
	ds_load_b128 v[32:35], v254 offset:12672
	v_add_co_u32 v2, s0, s10, v0
	s_wait_alu 0xf1ff
	v_add_co_ci_u32_e64 v3, s0, s11, v1, s0
	v_fma_f64 v[0:1], v[54:55], v[12:13], v[36:37]
	ds_load_b128 v[12:15], v254 offset:14256
	v_lshlrev_b64_e32 v[40:41], 4, v[40:41]
	v_mul_f64_e32 v[36:37], v[74:75], v[10:11]
	v_mul_f64_e32 v[54:55], v[74:75], v[8:9]
	v_fma_f64 v[74:75], v[76:77], v[28:29], v[42:43]
	v_fma_f64 v[76:77], v[76:77], v[30:31], -v[44:45]
	ds_load_b128 v[28:31], v254 offset:22176
	v_add_co_u32 v4, s0, v2, v40
	s_wait_alu 0xf1ff
	v_add_co_ci_u32_e64 v5, s0, v3, v41, s0
	v_mul_f64_e32 v[44:45], s[2:3], v[56:57]
	s_wait_alu 0xfffe
	v_add_co_u32 v40, s0, v4, s6
	s_wait_alu 0xf1ff
	v_add_co_ci_u32_e64 v41, s0, s7, v5, s0
	s_wait_loadcnt_dscnt 0x2
	v_mul_f64_e32 v[46:47], v[80:81], v[34:35]
	v_mul_f64_e32 v[48:49], v[80:81], v[32:33]
	scratch_load_b128 v[80:83], off, off offset:172 th:TH_LOAD_LU ; 16-byte Folded Reload
	global_store_b128 v[4:5], v[20:23], off
	ds_load_b128 v[20:23], v254 offset:17424
	global_store_b128 v[40:41], v[24:27], off
	v_mul_f64_e32 v[4:5], s[2:3], v[50:51]
	ds_load_b128 v[24:27], v254 offset:20592
	v_mul_f64_e32 v[50:51], s[2:3], v[62:63]
	v_fma_f64 v[70:71], v[72:73], v[8:9], v[36:37]
	v_fma_f64 v[54:55], v[72:73], v[10:11], -v[54:55]
	v_add_co_u32 v72, s0, v40, s6
	s_wait_alu 0xf1ff
	v_add_co_ci_u32_e64 v73, s0, s7, v41, s0
	v_mul_f64_e32 v[36:37], s[2:3], v[0:1]
	ds_load_b128 v[40:43], v254 offset:23760
	ds_load_b128 v[8:11], v254 offset:19008
	v_fma_f64 v[0:1], v[78:79], v[32:33], v[46:47]
	v_mul_f64_e32 v[46:47], s[2:3], v[58:59]
	v_fma_f64 v[78:79], v[78:79], v[34:35], -v[48:49]
	v_mul_f64_e32 v[48:49], s[2:3], v[60:61]
	ds_load_b128 v[32:35], v254 offset:25344
	global_store_b128 v[72:73], v[4:7], off
	v_add_co_u32 v6, s0, v72, s6
	s_wait_alu 0xf1ff
	v_add_co_ci_u32_e64 v7, s0, s7, v73, s0
	global_store_b128 v[6:7], v[36:39], off
	v_add_co_u32 v6, s0, v6, s6
	s_wait_alu 0xf1ff
	v_add_co_ci_u32_e64 v7, s0, s7, v7, s0
	s_delay_alu instid0(VALU_DEP_2) | instskip(SKIP_1) | instid1(VALU_DEP_2)
	v_add_co_u32 v36, s0, v6, s6
	s_wait_alu 0xf1ff
	v_add_co_ci_u32_e64 v37, s0, s7, v7, s0
	s_wait_loadcnt_dscnt 0x6
	v_mul_f64_e32 v[64:65], v[82:83], v[14:15]
	v_mul_f64_e32 v[66:67], v[82:83], v[12:13]
	scratch_load_b128 v[82:85], off, off offset:188 th:TH_LOAD_LU ; 16-byte Folded Reload
	v_fma_f64 v[60:61], v[80:81], v[12:13], v[64:65]
	v_fma_f64 v[62:63], v[80:81], v[14:15], -v[66:67]
	s_wait_loadcnt 0x0
	v_mul_f64_e32 v[52:53], v[84:85], v[18:19]
	v_mul_f64_e32 v[68:69], v[84:85], v[16:17]
	scratch_load_b128 v[84:87], off, off offset:204 th:TH_LOAD_LU ; 16-byte Folded Reload
	v_fma_f64 v[52:53], v[82:83], v[16:17], v[52:53]
	v_fma_f64 v[68:69], v[82:83], v[18:19], -v[68:69]
	s_wait_dscnt 0x5
	v_mul_f64_e32 v[16:17], v[96:97], v[30:31]
	v_mul_f64_e32 v[18:19], v[96:97], v[28:29]
	scratch_load_b128 v[96:99], off, off offset:388 th:TH_LOAD_LU ; 16-byte Folded Reload
	s_wait_loadcnt_dscnt 0x104
	v_mul_f64_e32 v[56:57], v[86:87], v[22:23]
	v_mul_f64_e32 v[58:59], v[86:87], v[20:21]
	scratch_load_b128 v[86:89], off, off offset:228 th:TH_LOAD_LU ; 16-byte Folded Reload
	v_fma_f64 v[38:39], v[84:85], v[20:21], v[56:57]
	v_mul_f64_e32 v[20:21], s[2:3], v[52:53]
	s_wait_loadcnt_dscnt 0x100
	v_mul_f64_e32 v[4:5], v[98:99], v[34:35]
	v_mul_f64_e32 v[72:73], v[98:99], v[32:33]
	s_delay_alu instid0(VALU_DEP_1)
	v_fma_f64 v[72:73], v[96:97], v[34:35], -v[72:73]
	s_wait_loadcnt 0x0
	v_mul_f64_e32 v[12:13], v[88:89], v[10:11]
	v_mul_f64_e32 v[14:15], v[88:89], v[8:9]
	scratch_load_b128 v[88:91], off, off offset:260 th:TH_LOAD_LU ; 16-byte Folded Reload
	s_wait_loadcnt 0x0
	v_mul_f64_e32 v[64:65], v[90:91], v[26:27]
	v_mul_f64_e32 v[66:67], v[90:91], v[24:25]
	scratch_load_b128 v[90:93], off, off offset:356 th:TH_LOAD_LU ; 16-byte Folded Reload
	global_store_b128 v[6:7], v[44:47], off
	global_store_b128 v[36:37], v[48:51], off
	v_fma_f64 v[44:45], v[84:85], v[22:23], -v[58:59]
	v_fma_f64 v[46:47], v[86:87], v[8:9], v[12:13]
	v_fma_f64 v[48:49], v[86:87], v[10:11], -v[14:15]
	v_fma_f64 v[58:59], v[94:95], v[28:29], v[16:17]
	v_mul_f64_e32 v[6:7], s[2:3], v[54:55]
	v_mul_f64_e32 v[8:9], s[2:3], v[74:75]
	;; [unrolled: 1-line block ×3, first 2 shown]
	v_add_co_u32 v54, s0, v36, s6
	s_wait_alu 0xf1ff
	v_add_co_ci_u32_e64 v55, s0, s7, v37, s0
	v_mul_f64_e32 v[12:13], s[2:3], v[0:1]
	v_mul_f64_e32 v[14:15], s[2:3], v[78:79]
	;; [unrolled: 1-line block ×4, first 2 shown]
	v_fma_f64 v[50:51], v[88:89], v[24:25], v[64:65]
	v_fma_f64 v[56:57], v[88:89], v[26:27], -v[66:67]
	v_fma_f64 v[64:65], v[94:95], v[30:31], -v[18:19]
	v_fma_f64 v[66:67], v[96:97], v[32:33], v[4:5]
	v_mul_f64_e32 v[4:5], s[2:3], v[70:71]
	v_add_co_u32 v70, s0, v54, s6
	s_wait_alu 0xf1ff
	v_add_co_ci_u32_e64 v71, s0, s7, v55, s0
	v_mul_f64_e32 v[18:19], s[2:3], v[62:63]
	s_delay_alu instid0(VALU_DEP_3) | instskip(SKIP_1) | instid1(VALU_DEP_3)
	v_add_co_u32 v0, s0, v70, s6
	s_wait_alu 0xf1ff
	v_add_co_ci_u32_e64 v1, s0, s7, v71, s0
	v_mul_f64_e32 v[24:25], s[2:3], v[38:39]
	s_delay_alu instid0(VALU_DEP_3) | instskip(SKIP_1) | instid1(VALU_DEP_3)
	v_add_co_u32 v52, s0, v0, s6
	s_wait_alu 0xf1ff
	v_add_co_ci_u32_e64 v53, s0, s7, v1, s0
	v_mul_f64_e32 v[26:27], s[2:3], v[44:45]
	v_mul_f64_e32 v[28:29], s[2:3], v[46:47]
	;; [unrolled: 1-line block ×3, first 2 shown]
	v_add_co_u32 v48, s0, v52, s6
	v_mul_f64_e32 v[36:37], s[2:3], v[58:59]
	s_wait_alu 0xf1ff
	v_add_co_ci_u32_e64 v49, s0, s7, v53, s0
	v_mul_f64_e32 v[46:47], s[2:3], v[72:73]
	v_mul_f64_e32 v[32:33], s[2:3], v[50:51]
	;; [unrolled: 1-line block ×5, first 2 shown]
	global_store_b128 v[54:55], v[4:7], off
	v_add_co_u32 v4, s0, v48, s6
	s_wait_alu 0xf1ff
	v_add_co_ci_u32_e64 v5, s0, s7, v49, s0
	global_store_b128 v[70:71], v[8:11], off
	v_add_co_u32 v6, s0, v4, s6
	s_wait_alu 0xf1ff
	v_add_co_ci_u32_e64 v7, s0, s7, v5, s0
	;; [unrolled: 4-line block ×6, first 2 shown]
	s_wait_loadcnt 0x0
	v_mul_f64_e32 v[80:81], v[92:93], v[42:43]
	v_mul_f64_e32 v[82:83], v[92:93], v[40:41]
	s_delay_alu instid0(VALU_DEP_2) | instskip(NEXT) | instid1(VALU_DEP_2)
	v_fma_f64 v[40:41], v[90:91], v[40:41], v[80:81]
	v_fma_f64 v[42:43], v[90:91], v[42:43], -v[82:83]
	s_delay_alu instid0(VALU_DEP_2) | instskip(NEXT) | instid1(VALU_DEP_2)
	v_mul_f64_e32 v[40:41], s[2:3], v[40:41]
	v_mul_f64_e32 v[42:43], s[2:3], v[42:43]
	global_store_b128 v[6:7], v[28:31], off
	global_store_b128 v[8:9], v[32:35], off
	;; [unrolled: 1-line block ×5, first 2 shown]
	s_and_b32 exec_lo, exec_lo, vcc_lo
	s_cbranch_execz .LBB0_15
; %bb.14:
	scratch_load_b64 v[18:19], off, off offset:4 th:TH_LOAD_LU ; 8-byte Folded Reload
	v_mad_co_u64_u32 v[0:1], null, 0xffffa030, s4, v[0:1]
	s_mul_i32 s0, s5, 0xffffa030
	s_wait_alu 0xfffe
	s_sub_co_i32 s0, s0, s4
	s_wait_alu 0xfffe
	s_delay_alu instid0(VALU_DEP_1)
	v_add_nc_u32_e32 v1, s0, v1
	s_wait_loadcnt 0x0
	global_load_b128 v[4:7], v[18:19], off offset:816
	ds_load_b128 v[8:11], v254 offset:816
	ds_load_b128 v[12:15], v254 offset:2400
	s_wait_loadcnt_dscnt 0x1
	v_mul_f64_e32 v[16:17], v[10:11], v[6:7]
	v_mul_f64_e32 v[6:7], v[8:9], v[6:7]
	s_delay_alu instid0(VALU_DEP_2) | instskip(NEXT) | instid1(VALU_DEP_2)
	v_fma_f64 v[8:9], v[8:9], v[4:5], v[16:17]
	v_fma_f64 v[6:7], v[4:5], v[10:11], -v[6:7]
	s_delay_alu instid0(VALU_DEP_2) | instskip(NEXT) | instid1(VALU_DEP_2)
	v_mul_f64_e32 v[4:5], s[2:3], v[8:9]
	v_mul_f64_e32 v[6:7], s[2:3], v[6:7]
	global_store_b128 v[0:1], v[4:7], off
	global_load_b128 v[4:7], v[18:19], off offset:2400
	v_add_co_u32 v0, vcc_lo, v0, s6
	s_wait_alu 0xfffd
	v_add_co_ci_u32_e32 v1, vcc_lo, s7, v1, vcc_lo
	s_wait_loadcnt_dscnt 0x0
	v_mul_f64_e32 v[8:9], v[14:15], v[6:7]
	v_mul_f64_e32 v[6:7], v[12:13], v[6:7]
	s_delay_alu instid0(VALU_DEP_2) | instskip(NEXT) | instid1(VALU_DEP_2)
	v_fma_f64 v[8:9], v[12:13], v[4:5], v[8:9]
	v_fma_f64 v[6:7], v[4:5], v[14:15], -v[6:7]
	s_delay_alu instid0(VALU_DEP_2) | instskip(NEXT) | instid1(VALU_DEP_2)
	v_mul_f64_e32 v[4:5], s[2:3], v[8:9]
	v_mul_f64_e32 v[6:7], s[2:3], v[6:7]
	global_store_b128 v[0:1], v[4:7], off
	global_load_b128 v[4:7], v[18:19], off offset:3984
	ds_load_b128 v[8:11], v254 offset:3984
	ds_load_b128 v[12:15], v254 offset:5568
	v_add_co_u32 v0, vcc_lo, v0, s6
	s_wait_alu 0xfffd
	v_add_co_ci_u32_e32 v1, vcc_lo, s7, v1, vcc_lo
	s_wait_loadcnt_dscnt 0x1
	v_mul_f64_e32 v[16:17], v[10:11], v[6:7]
	v_mul_f64_e32 v[6:7], v[8:9], v[6:7]
	s_delay_alu instid0(VALU_DEP_2) | instskip(NEXT) | instid1(VALU_DEP_2)
	v_fma_f64 v[8:9], v[8:9], v[4:5], v[16:17]
	v_fma_f64 v[6:7], v[4:5], v[10:11], -v[6:7]
	s_delay_alu instid0(VALU_DEP_2) | instskip(NEXT) | instid1(VALU_DEP_2)
	v_mul_f64_e32 v[4:5], s[2:3], v[8:9]
	v_mul_f64_e32 v[6:7], s[2:3], v[6:7]
	global_store_b128 v[0:1], v[4:7], off
	global_load_b128 v[4:7], v[18:19], off offset:5568
	v_add_co_u32 v0, vcc_lo, v0, s6
	s_wait_alu 0xfffd
	v_add_co_ci_u32_e32 v1, vcc_lo, s7, v1, vcc_lo
	s_wait_loadcnt_dscnt 0x0
	v_mul_f64_e32 v[8:9], v[14:15], v[6:7]
	v_mul_f64_e32 v[6:7], v[12:13], v[6:7]
	s_delay_alu instid0(VALU_DEP_2) | instskip(NEXT) | instid1(VALU_DEP_2)
	v_fma_f64 v[8:9], v[12:13], v[4:5], v[8:9]
	v_fma_f64 v[6:7], v[4:5], v[14:15], -v[6:7]
	s_delay_alu instid0(VALU_DEP_2) | instskip(NEXT) | instid1(VALU_DEP_2)
	v_mul_f64_e32 v[4:5], s[2:3], v[8:9]
	v_mul_f64_e32 v[6:7], s[2:3], v[6:7]
	global_store_b128 v[0:1], v[4:7], off
	global_load_b128 v[4:7], v[18:19], off offset:7152
	ds_load_b128 v[8:11], v254 offset:7152
	ds_load_b128 v[12:15], v254 offset:8736
	v_add_co_u32 v0, vcc_lo, v0, s6
	s_wait_alu 0xfffd
	v_add_co_ci_u32_e32 v1, vcc_lo, s7, v1, vcc_lo
	;; [unrolled: 30-line block ×6, first 2 shown]
	s_wait_loadcnt_dscnt 0x1
	v_mul_f64_e32 v[16:17], v[10:11], v[6:7]
	v_mul_f64_e32 v[6:7], v[8:9], v[6:7]
	s_delay_alu instid0(VALU_DEP_2) | instskip(NEXT) | instid1(VALU_DEP_2)
	v_fma_f64 v[8:9], v[8:9], v[4:5], v[16:17]
	v_fma_f64 v[6:7], v[4:5], v[10:11], -v[6:7]
	s_delay_alu instid0(VALU_DEP_2) | instskip(NEXT) | instid1(VALU_DEP_2)
	v_mul_f64_e32 v[4:5], s[2:3], v[8:9]
	v_mul_f64_e32 v[6:7], s[2:3], v[6:7]
	global_store_b128 v[0:1], v[4:7], off
	global_load_b128 v[4:7], v[18:19], off offset:21408
	v_add_co_u32 v0, vcc_lo, v0, s6
	s_wait_alu 0xfffd
	v_add_co_ci_u32_e32 v1, vcc_lo, s7, v1, vcc_lo
	s_wait_loadcnt_dscnt 0x0
	v_mul_f64_e32 v[8:9], v[14:15], v[6:7]
	v_mul_f64_e32 v[6:7], v[12:13], v[6:7]
	s_delay_alu instid0(VALU_DEP_2) | instskip(NEXT) | instid1(VALU_DEP_2)
	v_fma_f64 v[8:9], v[12:13], v[4:5], v[8:9]
	v_fma_f64 v[6:7], v[4:5], v[14:15], -v[6:7]
	s_delay_alu instid0(VALU_DEP_2) | instskip(NEXT) | instid1(VALU_DEP_2)
	v_mul_f64_e32 v[4:5], s[2:3], v[8:9]
	v_mul_f64_e32 v[6:7], s[2:3], v[6:7]
	global_store_b128 v[0:1], v[4:7], off
	global_load_b128 v[4:7], v[18:19], off offset:22992
	ds_load_b128 v[8:11], v254 offset:22992
	ds_load_b128 v[12:15], v254 offset:24576
	s_wait_loadcnt_dscnt 0x1
	v_mul_f64_e32 v[16:17], v[10:11], v[6:7]
	v_mul_f64_e32 v[6:7], v[8:9], v[6:7]
	s_delay_alu instid0(VALU_DEP_2) | instskip(NEXT) | instid1(VALU_DEP_2)
	v_fma_f64 v[8:9], v[8:9], v[4:5], v[16:17]
	v_fma_f64 v[6:7], v[4:5], v[10:11], -v[6:7]
	s_delay_alu instid0(VALU_DEP_2) | instskip(NEXT) | instid1(VALU_DEP_2)
	v_mul_f64_e32 v[4:5], s[2:3], v[8:9]
	v_mul_f64_e32 v[6:7], s[2:3], v[6:7]
	v_add_co_u32 v8, vcc_lo, v0, s6
	s_wait_alu 0xfffd
	v_add_co_ci_u32_e32 v9, vcc_lo, s7, v1, vcc_lo
	global_store_b128 v[8:9], v[4:7], off
	global_load_b128 v[4:7], v[18:19], off offset:24576
	s_wait_loadcnt_dscnt 0x0
	v_mul_f64_e32 v[0:1], v[14:15], v[6:7]
	v_mul_f64_e32 v[6:7], v[12:13], v[6:7]
	s_delay_alu instid0(VALU_DEP_2) | instskip(SKIP_3) | instid1(VALU_DEP_2)
	v_fma_f64 v[0:1], v[12:13], v[4:5], v[0:1]
	scratch_load_b32 v12, off, off offset:1704 th:TH_LOAD_LU ; 4-byte Folded Reload
	v_fma_f64 v[6:7], v[4:5], v[14:15], -v[6:7]
	v_mul_f64_e32 v[4:5], s[2:3], v[0:1]
	v_mul_f64_e32 v[6:7], s[2:3], v[6:7]
	s_wait_loadcnt 0x0
	v_mad_co_u64_u32 v[10:11], null, s4, v12, 0
	s_delay_alu instid0(VALU_DEP_1) | instskip(NEXT) | instid1(VALU_DEP_1)
	v_mov_b32_e32 v0, v11
	v_mad_co_u64_u32 v[0:1], null, s5, v12, v[0:1]
	s_delay_alu instid0(VALU_DEP_1) | instskip(NEXT) | instid1(VALU_DEP_1)
	v_mov_b32_e32 v11, v0
	v_lshlrev_b64_e32 v[0:1], 4, v[10:11]
	s_delay_alu instid0(VALU_DEP_1) | instskip(SKIP_1) | instid1(VALU_DEP_2)
	v_add_co_u32 v0, vcc_lo, v2, v0
	s_wait_alu 0xfffd
	v_add_co_ci_u32_e32 v1, vcc_lo, v3, v1, vcc_lo
	global_store_b128 v[0:1], v[4:7], off
	global_load_b128 v[0:3], v[18:19], off offset:26160
	ds_load_b128 v[4:7], v254 offset:26160
	s_wait_loadcnt_dscnt 0x0
	v_mul_f64_e32 v[10:11], v[6:7], v[2:3]
	v_mul_f64_e32 v[2:3], v[4:5], v[2:3]
	s_delay_alu instid0(VALU_DEP_2) | instskip(NEXT) | instid1(VALU_DEP_2)
	v_fma_f64 v[4:5], v[4:5], v[0:1], v[10:11]
	v_fma_f64 v[2:3], v[0:1], v[6:7], -v[2:3]
	s_delay_alu instid0(VALU_DEP_2) | instskip(NEXT) | instid1(VALU_DEP_2)
	v_mul_f64_e32 v[0:1], s[2:3], v[4:5]
	v_mul_f64_e32 v[2:3], s[2:3], v[2:3]
	v_mad_co_u64_u32 v[4:5], null, 0xc60, s4, v[8:9]
	s_delay_alu instid0(VALU_DEP_1)
	v_mad_co_u64_u32 v[5:6], null, 0xc60, s5, v[5:6]
	global_store_b128 v[4:5], v[0:3], off
.LBB0_15:
	s_nop 0
	s_sendmsg sendmsg(MSG_DEALLOC_VGPRS)
	s_endpgm
	.section	.rodata,"a",@progbits
	.p2align	6, 0x0
	.amdhsa_kernel bluestein_single_fwd_len1683_dim1_dp_op_CI_CI
		.amdhsa_group_segment_fixed_size 26928
		.amdhsa_private_segment_fixed_size 1716
		.amdhsa_kernarg_size 104
		.amdhsa_user_sgpr_count 2
		.amdhsa_user_sgpr_dispatch_ptr 0
		.amdhsa_user_sgpr_queue_ptr 0
		.amdhsa_user_sgpr_kernarg_segment_ptr 1
		.amdhsa_user_sgpr_dispatch_id 0
		.amdhsa_user_sgpr_private_segment_size 0
		.amdhsa_wavefront_size32 1
		.amdhsa_uses_dynamic_stack 0
		.amdhsa_enable_private_segment 1
		.amdhsa_system_sgpr_workgroup_id_x 1
		.amdhsa_system_sgpr_workgroup_id_y 0
		.amdhsa_system_sgpr_workgroup_id_z 0
		.amdhsa_system_sgpr_workgroup_info 0
		.amdhsa_system_vgpr_workitem_id 0
		.amdhsa_next_free_vgpr 256
		.amdhsa_next_free_sgpr 60
		.amdhsa_reserve_vcc 1
		.amdhsa_float_round_mode_32 0
		.amdhsa_float_round_mode_16_64 0
		.amdhsa_float_denorm_mode_32 3
		.amdhsa_float_denorm_mode_16_64 3
		.amdhsa_fp16_overflow 0
		.amdhsa_workgroup_processor_mode 1
		.amdhsa_memory_ordered 1
		.amdhsa_forward_progress 0
		.amdhsa_round_robin_scheduling 0
		.amdhsa_exception_fp_ieee_invalid_op 0
		.amdhsa_exception_fp_denorm_src 0
		.amdhsa_exception_fp_ieee_div_zero 0
		.amdhsa_exception_fp_ieee_overflow 0
		.amdhsa_exception_fp_ieee_underflow 0
		.amdhsa_exception_fp_ieee_inexact 0
		.amdhsa_exception_int_div_zero 0
	.end_amdhsa_kernel
	.text
.Lfunc_end0:
	.size	bluestein_single_fwd_len1683_dim1_dp_op_CI_CI, .Lfunc_end0-bluestein_single_fwd_len1683_dim1_dp_op_CI_CI
                                        ; -- End function
	.section	.AMDGPU.csdata,"",@progbits
; Kernel info:
; codeLenInByte = 57016
; NumSgprs: 62
; NumVgprs: 256
; ScratchSize: 1716
; MemoryBound: 0
; FloatMode: 240
; IeeeMode: 1
; LDSByteSize: 26928 bytes/workgroup (compile time only)
; SGPRBlocks: 7
; VGPRBlocks: 31
; NumSGPRsForWavesPerEU: 62
; NumVGPRsForWavesPerEU: 256
; Occupancy: 2
; WaveLimiterHint : 1
; COMPUTE_PGM_RSRC2:SCRATCH_EN: 1
; COMPUTE_PGM_RSRC2:USER_SGPR: 2
; COMPUTE_PGM_RSRC2:TRAP_HANDLER: 0
; COMPUTE_PGM_RSRC2:TGID_X_EN: 1
; COMPUTE_PGM_RSRC2:TGID_Y_EN: 0
; COMPUTE_PGM_RSRC2:TGID_Z_EN: 0
; COMPUTE_PGM_RSRC2:TIDIG_COMP_CNT: 0
	.text
	.p2alignl 7, 3214868480
	.fill 96, 4, 3214868480
	.type	__hip_cuid_de23466915b25653,@object ; @__hip_cuid_de23466915b25653
	.section	.bss,"aw",@nobits
	.globl	__hip_cuid_de23466915b25653
__hip_cuid_de23466915b25653:
	.byte	0                               ; 0x0
	.size	__hip_cuid_de23466915b25653, 1

	.ident	"AMD clang version 19.0.0git (https://github.com/RadeonOpenCompute/llvm-project roc-6.4.0 25133 c7fe45cf4b819c5991fe208aaa96edf142730f1d)"
	.section	".note.GNU-stack","",@progbits
	.addrsig
	.addrsig_sym __hip_cuid_de23466915b25653
	.amdgpu_metadata
---
amdhsa.kernels:
  - .args:
      - .actual_access:  read_only
        .address_space:  global
        .offset:         0
        .size:           8
        .value_kind:     global_buffer
      - .actual_access:  read_only
        .address_space:  global
        .offset:         8
        .size:           8
        .value_kind:     global_buffer
      - .actual_access:  read_only
        .address_space:  global
        .offset:         16
        .size:           8
        .value_kind:     global_buffer
      - .actual_access:  read_only
        .address_space:  global
        .offset:         24
        .size:           8
        .value_kind:     global_buffer
      - .actual_access:  read_only
        .address_space:  global
        .offset:         32
        .size:           8
        .value_kind:     global_buffer
      - .offset:         40
        .size:           8
        .value_kind:     by_value
      - .address_space:  global
        .offset:         48
        .size:           8
        .value_kind:     global_buffer
      - .address_space:  global
        .offset:         56
        .size:           8
        .value_kind:     global_buffer
      - .address_space:  global
        .offset:         64
        .size:           8
        .value_kind:     global_buffer
      - .address_space:  global
        .offset:         72
        .size:           8
        .value_kind:     global_buffer
      - .offset:         80
        .size:           4
        .value_kind:     by_value
      - .address_space:  global
        .offset:         88
        .size:           8
        .value_kind:     global_buffer
      - .address_space:  global
        .offset:         96
        .size:           8
        .value_kind:     global_buffer
    .group_segment_fixed_size: 26928
    .kernarg_segment_align: 8
    .kernarg_segment_size: 104
    .language:       OpenCL C
    .language_version:
      - 2
      - 0
    .max_flat_workgroup_size: 51
    .name:           bluestein_single_fwd_len1683_dim1_dp_op_CI_CI
    .private_segment_fixed_size: 1716
    .sgpr_count:     62
    .sgpr_spill_count: 0
    .symbol:         bluestein_single_fwd_len1683_dim1_dp_op_CI_CI.kd
    .uniform_work_group_size: 1
    .uses_dynamic_stack: false
    .vgpr_count:     256
    .vgpr_spill_count: 552
    .wavefront_size: 32
    .workgroup_processor_mode: 1
amdhsa.target:   amdgcn-amd-amdhsa--gfx1201
amdhsa.version:
  - 1
  - 2
...

	.end_amdgpu_metadata
